;; amdgpu-corpus repo=ROCm/rocFFT kind=compiled arch=gfx906 opt=O3
	.text
	.amdgcn_target "amdgcn-amd-amdhsa--gfx906"
	.amdhsa_code_object_version 6
	.protected	bluestein_single_back_len1404_dim1_sp_op_CI_CI ; -- Begin function bluestein_single_back_len1404_dim1_sp_op_CI_CI
	.globl	bluestein_single_back_len1404_dim1_sp_op_CI_CI
	.p2align	8
	.type	bluestein_single_back_len1404_dim1_sp_op_CI_CI,@function
bluestein_single_back_len1404_dim1_sp_op_CI_CI: ; @bluestein_single_back_len1404_dim1_sp_op_CI_CI
; %bb.0:
	s_load_dwordx4 s[16:19], s[4:5], 0x28
	v_mul_u32_u24_e32 v1, 0x231, v0
	v_add_u32_sdwa v94, s6, v1 dst_sel:DWORD dst_unused:UNUSED_PAD src0_sel:DWORD src1_sel:WORD_1
	v_mov_b32_e32 v95, 0
	s_waitcnt lgkmcnt(0)
	v_cmp_gt_u64_e32 vcc, s[16:17], v[94:95]
	s_and_saveexec_b64 s[0:1], vcc
	s_cbranch_execz .LBB0_10
; %bb.1:
	s_load_dwordx4 s[0:3], s[4:5], 0x18
	s_load_dwordx4 s[12:15], s[4:5], 0x0
                                        ; implicit-def: $vgpr64
	s_waitcnt lgkmcnt(0)
	s_load_dwordx4 s[8:11], s[0:1], 0x0
	s_movk_i32 s0, 0x75
	v_mul_lo_u16_sdwa v1, v1, s0 dst_sel:DWORD dst_unused:UNUSED_PAD src0_sel:WORD_1 src1_sel:DWORD
	v_sub_u16_e32 v107, v0, v1
	v_lshlrev_b32_e32 v108, 3, v107
	s_waitcnt lgkmcnt(0)
	v_mad_u64_u32 v[0:1], s[6:7], s10, v94, 0
	v_mad_u64_u32 v[2:3], s[6:7], s8, v107, 0
	s_mul_i32 s1, s9, 0x15f0
	v_add_u32_e32 v37, 0x1400, v108
	v_mad_u64_u32 v[4:5], s[6:7], s11, v94, v[1:2]
	v_add_u32_e32 v38, 0x1c00, v108
	v_add_u32_e32 v39, 0x2400, v108
	v_mad_u64_u32 v[5:6], s[6:7], s9, v107, v[3:4]
	v_mov_b32_e32 v1, v4
	v_lshlrev_b64 v[0:1], 3, v[0:1]
	v_mov_b32_e32 v6, s19
	v_mov_b32_e32 v3, v5
	v_add_co_u32_e32 v4, vcc, s18, v0
	v_addc_co_u32_e32 v5, vcc, v6, v1, vcc
	v_lshlrev_b64 v[0:1], 3, v[2:3]
	v_mov_b32_e32 v2, s13
	v_add_co_u32_e32 v0, vcc, v4, v0
	v_addc_co_u32_e32 v1, vcc, v5, v1, vcc
	v_add_co_u32_e32 v20, vcc, s12, v108
	s_mul_hi_u32 s6, s8, 0x15f0
	v_addc_co_u32_e32 v21, vcc, 0, v2, vcc
	s_add_i32 s1, s6, s1
	s_mul_i32 s6, s8, 0x15f0
	v_mov_b32_e32 v3, s1
	v_add_co_u32_e32 v2, vcc, s6, v0
	v_addc_co_u32_e32 v3, vcc, v1, v3, vcc
	s_movk_i32 s7, 0x1000
	global_load_dwordx2 v[4:5], v[0:1], off
	global_load_dwordx2 v[6:7], v[2:3], off
	v_add_co_u32_e32 v0, vcc, s7, v20
	s_mul_i32 s7, s9, 0xffffedb8
	s_mul_hi_u32 s9, s8, 0xffffedb8
	s_sub_i32 s9, s9, s8
	v_addc_co_u32_e32 v1, vcc, 0, v21, vcc
	s_add_i32 s7, s9, s7
	s_mulk_i32 s8, 0xedb8
	v_mov_b32_e32 v8, s7
	v_add_co_u32_e32 v2, vcc, s8, v2
	v_addc_co_u32_e32 v3, vcc, v3, v8, vcc
	v_mov_b32_e32 v9, s1
	v_add_co_u32_e32 v8, vcc, s6, v2
	v_addc_co_u32_e32 v9, vcc, v3, v9, vcc
	;; [unrolled: 3-line block ×3, first 2 shown]
	global_load_dwordx2 v[97:98], v[0:1], off offset:1520
	global_load_dwordx2 v[103:104], v108, s[12:13]
	global_load_dwordx2 v[95:96], v108, s[12:13] offset:936
	global_load_dwordx2 v[12:13], v[2:3], off
	global_load_dwordx2 v[14:15], v[8:9], off
	global_load_dwordx2 v[16:17], v[10:11], off
	v_mov_b32_e32 v3, s1
	v_add_co_u32_e32 v2, vcc, s6, v10
	v_addc_co_u32_e32 v3, vcc, v11, v3, vcc
	global_load_dwordx2 v[8:9], v[2:3], off
	global_load_dwordx2 v[101:102], v[0:1], off offset:2456
	global_load_dwordx2 v[92:93], v[0:1], off offset:3392
	v_mov_b32_e32 v10, s7
	v_add_co_u32_e32 v2, vcc, s8, v2
	v_addc_co_u32_e32 v3, vcc, v3, v10, vcc
	global_load_dwordx2 v[10:11], v[2:3], off
	global_load_dwordx2 v[99:100], v108, s[12:13] offset:1872
	global_load_dwordx2 v[90:91], v108, s[12:13] offset:2808
	v_mov_b32_e32 v18, s1
	v_add_co_u32_e32 v2, vcc, s6, v2
	v_addc_co_u32_e32 v3, vcc, v3, v18, vcc
	s_movk_i32 s9, 0x2000
	v_add_co_u32_e32 v20, vcc, s9, v20
	v_addc_co_u32_e32 v21, vcc, 0, v21, vcc
	global_load_dwordx2 v[18:19], v[2:3], off
	v_mov_b32_e32 v22, s7
	v_add_co_u32_e32 v2, vcc, s8, v2
	v_addc_co_u32_e32 v3, vcc, v3, v22, vcc
	global_load_dwordx2 v[88:89], v[20:21], off offset:232
	global_load_dwordx2 v[22:23], v[2:3], off
	global_load_dwordx2 v[86:87], v108, s[12:13] offset:3744
	v_mov_b32_e32 v24, s1
	v_add_co_u32_e32 v2, vcc, s6, v2
	v_addc_co_u32_e32 v3, vcc, v3, v24, vcc
	global_load_dwordx2 v[24:25], v[2:3], off
	global_load_dwordx2 v[84:85], v[20:21], off offset:1168
	v_mov_b32_e32 v26, s7
	v_add_co_u32_e32 v2, vcc, s8, v2
	v_addc_co_u32_e32 v3, vcc, v3, v26, vcc
	global_load_dwordx2 v[26:27], v[2:3], off
	global_load_dwordx2 v[82:83], v[0:1], off offset:584
	;; [unrolled: 5-line block ×3, first 2 shown]
	s_load_dwordx4 s[8:11], s[2:3], 0x0
	v_add_co_u32_e32 v69, vcc, s0, v107
	v_addc_co_u32_e64 v70, s[0:1], 0, 0, vcc
	s_movk_i32 s0, 0xea
	v_add_co_u32_e32 v66, vcc, s0, v107
	s_movk_i32 s0, 0x15f
	v_lshlrev_b32_e32 v78, 4, v107
	v_add_co_u32_e32 v68, vcc, s0, v107
	v_lshlrev_b32_e32 v36, 1, v107
	v_lshlrev_b32_e32 v79, 4, v69
	;; [unrolled: 1-line block ×5, first 2 shown]
	v_add_u32_e32 v105, 0x249, v107
	s_movk_i32 s0, 0xfc
	v_lshlrev_b32_e32 v71, 1, v69
	v_add_u32_e32 v106, 0x3a8, v36
	s_load_dwordx2 s[2:3], s[4:5], 0x38
	s_waitcnt vmcnt(20)
	v_mul_f32_e32 v0, v5, v104
	v_mul_f32_e32 v1, v4, v104
	v_fmac_f32_e32 v0, v4, v103
	v_fma_f32 v1, v5, v103, -v1
	v_mul_f32_e32 v4, v7, v98
	v_mul_f32_e32 v5, v6, v98
	v_fmac_f32_e32 v4, v6, v97
	v_fma_f32 v5, v7, v97, -v5
	ds_write_b64 v108, v[4:5] offset:5616
	s_waitcnt vmcnt(18)
	v_mul_f32_e32 v4, v13, v96
	v_mul_f32_e32 v5, v12, v96
	v_fmac_f32_e32 v4, v12, v95
	v_fma_f32 v5, v13, v95, -v5
	ds_write2_b64 v108, v[0:1], v[4:5] offset1:117
	s_waitcnt vmcnt(14)
	v_mul_f32_e32 v0, v15, v102
	v_mul_f32_e32 v1, v14, v102
	s_waitcnt vmcnt(13)
	v_mul_f32_e32 v6, v9, v93
	v_mul_f32_e32 v7, v8, v93
	v_fmac_f32_e32 v0, v14, v101
	v_fma_f32 v1, v15, v101, -v1
	v_fmac_f32_e32 v6, v8, v92
	v_fma_f32 v7, v9, v92, -v7
	v_add_u32_e32 v12, 0x1800, v108
	s_waitcnt vmcnt(11)
	v_mul_f32_e32 v4, v17, v100
	v_mul_f32_e32 v5, v16, v100
	ds_write2_b64 v12, v[0:1], v[6:7] offset0:51 offset1:168
	s_waitcnt vmcnt(10)
	v_mul_f32_e32 v0, v11, v91
	v_mul_f32_e32 v1, v10, v91
	v_fmac_f32_e32 v4, v16, v99
	v_fma_f32 v5, v17, v99, -v5
	v_fmac_f32_e32 v0, v10, v90
	v_fma_f32 v1, v11, v90, -v1
	v_add_u32_e32 v14, 0x400, v108
	ds_write2_b64 v14, v[4:5], v[0:1] offset0:106 offset1:223
	s_waitcnt vmcnt(8)
	v_mul_f32_e32 v0, v19, v89
	v_mul_f32_e32 v1, v18, v89
	v_fmac_f32_e32 v0, v18, v88
	v_fma_f32 v1, v19, v88, -v1
	s_waitcnt vmcnt(4)
	v_mul_f32_e32 v6, v25, v85
	v_mul_f32_e32 v7, v24, v85
	v_fmac_f32_e32 v6, v24, v84
	v_fma_f32 v7, v25, v84, -v7
	v_add_u32_e32 v13, 0x2000, v108
	v_mul_f32_e32 v4, v23, v87
	v_mul_f32_e32 v5, v22, v87
	ds_write2_b64 v13, v[0:1], v[6:7] offset0:29 offset1:146
	s_waitcnt vmcnt(2)
	v_mul_f32_e32 v0, v27, v83
	v_mul_f32_e32 v1, v26, v83
	v_fmac_f32_e32 v4, v22, v86
	v_fma_f32 v5, v23, v86, -v5
	v_fmac_f32_e32 v0, v26, v82
	v_fma_f32 v1, v27, v82, -v1
	v_add_u32_e32 v15, 0xc00, v108
	ds_write2_b64 v15, v[4:5], v[0:1] offset0:84 offset1:201
	s_waitcnt vmcnt(0)
	v_mul_f32_e32 v0, v3, v81
	v_mul_f32_e32 v1, v2, v81
	v_fmac_f32_e32 v0, v2, v80
	v_fma_f32 v1, v3, v80, -v1
	ds_write_b64 v108, v[0:1] offset:10296
	s_waitcnt lgkmcnt(0)
	s_barrier
	ds_read2_b64 v[0:3], v108 offset1:117
	ds_read2_b64 v[4:7], v37 offset0:62 offset1:179
	ds_read2_b64 v[8:11], v14 offset0:106 offset1:223
	;; [unrolled: 1-line block ×5, first 2 shown]
	s_waitcnt lgkmcnt(0)
	v_sub_f32_e32 v30, v0, v4
	v_sub_f32_e32 v31, v1, v5
	v_fma_f32 v28, v0, 2.0, -v30
	v_fma_f32 v29, v1, 2.0, -v31
	v_sub_f32_e32 v34, v8, v16
	v_sub_f32_e32 v35, v9, v17
	;; [unrolled: 1-line block ×4, first 2 shown]
	v_fma_f32 v32, v8, 2.0, -v34
	v_fma_f32 v33, v9, 2.0, -v35
	v_sub_f32_e32 v8, v10, v18
	v_sub_f32_e32 v9, v11, v19
	;; [unrolled: 1-line block ×4, first 2 shown]
	s_barrier
	ds_write_b128 v78, v[28:31]
	v_and_b32_e32 v28, 1, v107
	v_fma_f32 v2, v2, 2.0, -v4
	v_fma_f32 v3, v3, 2.0, -v5
	;; [unrolled: 1-line block ×6, first 2 shown]
	v_sub_f32_e32 v24, v22, v26
	v_sub_f32_e32 v25, v23, v27
	v_lshlrev_b32_e32 v0, 3, v28
	v_fma_f32 v22, v22, 2.0, -v24
	v_fma_f32 v23, v23, 2.0, -v25
	ds_write_b128 v79, v[2:5]
	ds_write_b128 v111, v[32:35]
	;; [unrolled: 1-line block ×3, first 2 shown]
	ds_write_b128 v67, v[16:19] offset:7488
	ds_write_b128 v78, v[22:25] offset:9360
	s_waitcnt lgkmcnt(0)
	s_barrier
	global_load_dwordx2 v[72:73], v0, s[14:15]
	v_and_b32_e32 v29, 1, v69
	v_and_b32_e32 v30, 1, v105
	v_lshlrev_b32_e32 v0, 3, v29
	v_lshlrev_b32_e32 v1, 3, v30
	v_and_b32_e32 v31, 1, v68
	global_load_dword v113, v1, s[14:15] offset:4
	global_load_dwordx2 v[74:75], v1, s[14:15]
	global_load_dword v114, v0, s[14:15]
	v_lshlrev_b32_e32 v0, 3, v31
	global_load_dwordx2 v[76:77], v0, s[14:15]
	ds_read2_b64 v[0:3], v37 offset0:62 offset1:179
	ds_read2_b64 v[4:7], v108 offset1:117
	ds_read2_b64 v[8:11], v38 offset0:40 offset1:157
	ds_read2_b64 v[16:19], v39 offset0:18 offset1:135
	s_waitcnt vmcnt(4) lgkmcnt(3)
	v_mul_f32_e32 v20, v1, v73
	v_fma_f32 v20, v0, v72, -v20
	v_mul_f32_e32 v0, v0, v73
	v_fmac_f32_e32 v0, v1, v72
	s_waitcnt lgkmcnt(1)
	v_mul_f32_e32 v24, v8, v73
	s_waitcnt vmcnt(2)
	v_mul_f32_e32 v1, v3, v75
	s_waitcnt vmcnt(1)
	v_fma_f32 v21, v2, v114, -v1
	v_mul_f32_e32 v1, v9, v73
	v_mul_f32_e32 v22, v2, v75
	v_fma_f32 v23, v8, v72, -v1
	s_waitcnt vmcnt(0)
	v_mul_f32_e32 v1, v11, v77
	v_fmac_f32_e32 v22, v3, v114
	v_fma_f32 v25, v10, v76, -v1
	s_waitcnt lgkmcnt(0)
	v_mul_f32_e32 v1, v17, v73
	v_mul_f32_e32 v32, v16, v73
	v_fmac_f32_e32 v24, v9, v72
	v_mul_f32_e32 v26, v10, v77
	v_fma_f32 v27, v16, v72, -v1
	v_fmac_f32_e32 v32, v17, v72
	v_mul_f32_e32 v1, v19, v113
	v_mul_f32_e32 v34, v18, v113
	v_sub_f32_e32 v8, v4, v20
	v_sub_f32_e32 v9, v5, v0
	;; [unrolled: 1-line block ×4, first 2 shown]
	v_fmac_f32_e32 v26, v11, v76
	v_fma_f32 v33, v18, v74, -v1
	v_fmac_f32_e32 v34, v19, v74
	v_fma_f32 v10, v4, 2.0, -v8
	v_fma_f32 v11, v5, 2.0, -v9
	ds_read2_b64 v[0:3], v14 offset0:106 offset1:223
	v_fma_f32 v18, v6, 2.0, -v16
	v_fma_f32 v19, v7, 2.0, -v17
	ds_read2_b64 v[4:7], v15 offset0:84 offset1:201
	s_waitcnt lgkmcnt(0)
	v_sub_f32_e32 v22, v2, v25
	s_barrier
	v_sub_f32_e32 v25, v5, v32
	v_and_or_b32 v32, v36, s0, v28
	v_lshlrev_b32_e32 v115, 3, v32
	s_movk_i32 s0, 0x1fc
	ds_write2_b64 v115, v[10:11], v[8:9] offset1:2
	v_and_or_b32 v8, v71, s0, v29
	v_lshlrev_b32_e32 v116, 3, v8
	v_lshlrev_b32_e32 v8, 1, v66
	s_movk_i32 s0, 0x3fc
	v_sub_f32_e32 v20, v0, v23
	v_sub_f32_e32 v21, v1, v24
	v_and_or_b32 v8, v8, s0, v28
	v_fma_f32 v0, v0, 2.0, -v20
	v_fma_f32 v1, v1, 2.0, -v21
	v_lshlrev_b32_e32 v9, 1, v68
	v_lshlrev_b32_e32 v117, 3, v8
	ds_write2_b64 v116, v[18:19], v[16:17] offset1:2
	ds_write2_b64 v117, v[0:1], v[20:21] offset1:2
	v_and_or_b32 v0, v9, s0, v31
	s_movk_i32 s0, 0x7fc
	v_lshlrev_b32_e32 v10, 1, v105
	v_lshlrev_b32_e32 v118, 3, v0
	v_and_or_b32 v0, v106, s0, v28
	s_movk_i32 s0, 0x5fc
	v_sub_f32_e32 v23, v3, v26
	v_sub_f32_e32 v24, v4, v27
	;; [unrolled: 1-line block ×4, first 2 shown]
	v_lshlrev_b32_e32 v119, 3, v0
	v_and_or_b32 v0, v10, s0, v30
	v_and_b32_e32 v28, 3, v107
	v_fma_f32 v2, v2, 2.0, -v22
	v_fma_f32 v3, v3, 2.0, -v23
	;; [unrolled: 1-line block ×6, first 2 shown]
	v_lshlrev_b32_e32 v120, 3, v0
	v_lshlrev_b32_e32 v0, 4, v28
	ds_write2_b64 v118, v[2:3], v[22:23] offset1:2
	ds_write2_b64 v119, v[4:5], v[24:25] offset1:2
	ds_write2_b64 v120, v[6:7], v[26:27] offset1:2
	s_waitcnt lgkmcnt(0)
	s_barrier
	global_load_dwordx4 v[0:3], v0, s[14:15] offset:16
	v_and_b32_e32 v29, 3, v69
	v_lshlrev_b32_e32 v4, 4, v29
	global_load_dwordx4 v[4:7], v4, s[14:15] offset:16
	v_and_b32_e32 v30, 3, v66
	v_lshlrev_b32_e32 v8, 4, v30
	;; [unrolled: 3-line block ×3, first 2 shown]
	global_load_dwordx4 v[8:11], v8, s[14:15] offset:16
	ds_read2_b64 v[16:19], v15 offset0:84 offset1:201
	ds_read2_b64 v[44:47], v108 offset1:117
	s_movk_i32 s0, 0x6c
	v_cmp_gt_u16_e32 vcc, s0, v107
	s_waitcnt vmcnt(3) lgkmcnt(1)
	v_mul_f32_e32 v24, v17, v1
	v_fma_f32 v32, v16, v0, -v24
	ds_read2_b64 v[24:27], v38 offset0:40 offset1:157
	v_mul_f32_e32 v33, v16, v1
	s_waitcnt vmcnt(2)
	v_mul_f32_e32 v16, v19, v5
	v_fma_f32 v34, v18, v4, -v16
	v_mul_f32_e32 v35, v18, v5
	s_waitcnt lgkmcnt(0)
	v_mul_f32_e32 v16, v25, v3
	v_fmac_f32_e32 v33, v17, v0
	v_fmac_f32_e32 v35, v19, v4
	v_fma_f32 v36, v24, v2, -v16
	ds_read2_b64 v[16:19], v37 offset0:62 offset1:179
	v_mul_f32_e32 v38, v24, v3
	v_mul_f32_e32 v24, v27, v7
	v_fma_f32 v37, v26, v6, -v24
	v_mul_f32_e32 v52, v26, v7
	s_waitcnt vmcnt(1) lgkmcnt(0)
	v_mul_f32_e32 v24, v17, v21
	v_fmac_f32_e32 v38, v25, v2
	v_fmac_f32_e32 v52, v27, v6
	v_fma_f32 v59, v16, v20, -v24
	ds_read2_b64 v[24:27], v39 offset0:18 offset1:135
	v_mul_f32_e32 v16, v16, v21
	v_fmac_f32_e32 v16, v17, v20
	s_waitcnt vmcnt(0)
	v_mul_f32_e32 v17, v19, v9
	v_fma_f32 v17, v18, v8, -v17
	v_mul_f32_e32 v18, v18, v9
	v_fmac_f32_e32 v18, v19, v8
	s_waitcnt lgkmcnt(0)
	v_mul_f32_e32 v19, v25, v23
	v_fma_f32 v19, v24, v22, -v19
	v_mul_f32_e32 v24, v24, v23
	v_fmac_f32_e32 v24, v25, v22
	v_mul_f32_e32 v25, v27, v11
	v_fma_f32 v25, v26, v10, -v25
	v_mul_f32_e32 v26, v26, v11
	v_add_f32_e32 v39, v32, v36
	v_fmac_f32_e32 v26, v27, v10
	v_add_f32_e32 v27, v44, v32
	v_fma_f32 v48, -0.5, v39, v44
	v_add_f32_e32 v40, v27, v36
	v_mov_b32_e32 v42, v48
	v_sub_f32_e32 v27, v33, v38
	v_fmac_f32_e32 v42, 0x3f5db3d7, v27
	v_fmac_f32_e32 v48, 0xbf5db3d7, v27
	v_add_f32_e32 v27, v45, v33
	v_add_f32_e32 v41, v27, v38
	;; [unrolled: 1-line block ×3, first 2 shown]
	v_fma_f32 v49, -0.5, v27, v45
	v_sub_f32_e32 v27, v32, v36
	v_mov_b32_e32 v43, v49
	v_fmac_f32_e32 v43, 0xbf5db3d7, v27
	v_fmac_f32_e32 v49, 0x3f5db3d7, v27
	v_add_f32_e32 v27, v46, v34
	v_add_f32_e32 v50, v27, v37
	;; [unrolled: 1-line block ×3, first 2 shown]
	v_fma_f32 v46, -0.5, v27, v46
	v_mov_b32_e32 v44, v46
	v_sub_f32_e32 v27, v35, v52
	v_fmac_f32_e32 v44, 0x3f5db3d7, v27
	v_fmac_f32_e32 v46, 0xbf5db3d7, v27
	v_add_f32_e32 v27, v47, v35
	v_add_f32_e32 v51, v27, v52
	;; [unrolled: 1-line block ×3, first 2 shown]
	ds_read2_b64 v[52:55], v14 offset0:106 offset1:223
	v_fmac_f32_e32 v47, -0.5, v27
	v_sub_f32_e32 v27, v34, v37
	v_mov_b32_e32 v45, v47
	v_add_f32_e32 v32, v59, v19
	v_fmac_f32_e32 v45, 0xbf5db3d7, v27
	v_fmac_f32_e32 v47, 0x3f5db3d7, v27
	s_waitcnt lgkmcnt(0)
	v_add_f32_e32 v27, v52, v59
	v_fma_f32 v60, -0.5, v32, v52
	v_add_f32_e32 v56, v27, v19
	v_mov_b32_e32 v58, v60
	v_sub_f32_e32 v27, v16, v24
	v_fmac_f32_e32 v58, 0x3f5db3d7, v27
	v_fmac_f32_e32 v60, 0xbf5db3d7, v27
	v_add_f32_e32 v27, v53, v16
	v_add_f32_e32 v16, v16, v24
	v_fma_f32 v61, -0.5, v16, v53
	v_sub_f32_e32 v16, v59, v19
	v_mov_b32_e32 v59, v61
	v_fmac_f32_e32 v59, 0xbf5db3d7, v16
	v_fmac_f32_e32 v61, 0x3f5db3d7, v16
	v_add_f32_e32 v16, v54, v17
	v_add_f32_e32 v62, v16, v25
	;; [unrolled: 1-line block ×3, first 2 shown]
	v_fma_f32 v54, -0.5, v16, v54
	v_mov_b32_e32 v52, v54
	v_sub_f32_e32 v16, v18, v26
	v_fmac_f32_e32 v52, 0x3f5db3d7, v16
	v_fmac_f32_e32 v54, 0xbf5db3d7, v16
	v_add_f32_e32 v16, v55, v18
	v_add_f32_e32 v63, v16, v26
	v_add_f32_e32 v16, v18, v26
	v_fmac_f32_e32 v55, -0.5, v16
	v_sub_f32_e32 v16, v17, v25
	v_mov_b32_e32 v53, v55
	v_fmac_f32_e32 v53, 0xbf5db3d7, v16
	v_fmac_f32_e32 v55, 0x3f5db3d7, v16
	v_lshrrev_b32_e32 v16, 2, v107
	v_lshrrev_b32_e32 v17, 2, v69
	;; [unrolled: 1-line block ×4, first 2 shown]
	v_mul_u32_u24_e32 v16, 12, v16
	v_mul_u32_u24_e32 v17, 12, v17
	;; [unrolled: 1-line block ×4, first 2 shown]
	v_or_b32_e32 v16, v16, v28
	v_or_b32_e32 v17, v17, v29
	;; [unrolled: 1-line block ×4, first 2 shown]
	v_add_f32_e32 v57, v27, v24
	v_lshlrev_b32_e32 v124, 3, v16
	v_lshlrev_b32_e32 v123, 3, v17
	v_lshlrev_b32_e32 v122, 3, v18
	v_lshlrev_b32_e32 v121, 3, v19
	s_barrier
	ds_write2_b64 v124, v[40:41], v[42:43] offset1:4
	ds_write_b64 v124, v[48:49] offset:64
	ds_write2_b64 v123, v[50:51], v[44:45] offset1:4
	ds_write_b64 v123, v[46:47] offset:64
	;; [unrolled: 2-line block ×4, first 2 shown]
	s_waitcnt lgkmcnt(0)
	s_barrier
	s_and_saveexec_b64 s[0:1], vcc
	s_cbranch_execz .LBB0_3
; %bb.2:
	ds_read2_b64 v[40:43], v108 offset1:108
	ds_read2_b64 v[48:51], v14 offset0:88 offset1:196
	ds_read2_b64 v[44:47], v15 offset0:48 offset1:156
	v_add_u32_e32 v14, 0x1000, v108
	ds_read2_b64 v[56:59], v14 offset0:136 offset1:244
	ds_read2_b64 v[60:63], v12 offset0:96 offset1:204
	;; [unrolled: 1-line block ×3, first 2 shown]
	ds_read_b64 v[64:65], v108 offset:10368
.LBB0_3:
	s_or_b64 exec, exec, s[0:1]
	s_movk_i32 s0, 0xab
	v_mul_lo_u16_sdwa v12, v107, s0 dst_sel:DWORD dst_unused:UNUSED_PAD src0_sel:BYTE_0 src1_sel:DWORD
	v_lshrrev_b16_e32 v109, 11, v12
	v_mul_lo_u16_e32 v12, 12, v109
	v_sub_u16_e32 v12, v107, v12
	v_and_b32_e32 v110, 0xff, v12
	v_mov_b32_e32 v12, s14
	s_movk_i32 s0, 0x60
	v_mov_b32_e32 v13, s15
	v_mad_u64_u32 v[125:126], s[0:1], v110, s0, v[12:13]
	global_load_dwordx4 v[28:31], v[125:126], off offset:80
	global_load_dwordx4 v[24:27], v[125:126], off offset:96
	;; [unrolled: 1-line block ×6, first 2 shown]
	v_lshlrev_b32_e32 v128, 4, v105
	v_lshlrev_b32_e32 v129, 3, v106
	s_mov_b32 s4, 0x3f62ad3f
	s_mov_b32 s5, 0x3f116cb1
	;; [unrolled: 1-line block ×6, first 2 shown]
	s_waitcnt vmcnt(0) lgkmcnt(0)
	s_barrier
	v_mul_f32_e32 v125, v42, v29
	v_mul_f32_e32 v126, v48, v31
	;; [unrolled: 1-line block ×7, first 2 shown]
	v_fmac_f32_e32 v125, v43, v28
	v_fmac_f32_e32 v139, v65, v38
	v_mul_f32_e32 v105, v43, v29
	v_mul_f32_e32 v127, v50, v25
	;; [unrolled: 1-line block ×8, first 2 shown]
	v_fmac_f32_e32 v126, v49, v30
	v_fmac_f32_e32 v132, v57, v14
	v_fma_f32 v57, v58, v16, -v145
	v_fma_f32 v58, v60, v18, -v146
	v_fmac_f32_e32 v137, v55, v36
	v_sub_f32_e32 v146, v125, v139
	v_mul_f32_e32 v106, v49, v31
	v_mul_f32_e32 v148, v53, v35
	;; [unrolled: 1-line block ×3, first 2 shown]
	v_fma_f32 v138, v42, v28, -v105
	v_fmac_f32_e32 v127, v51, v24
	v_fmac_f32_e32 v133, v59, v16
	;; [unrolled: 1-line block ×3, first 2 shown]
	v_fma_f32 v59, v62, v32, -v147
	v_fmac_f32_e32 v136, v53, v34
	v_fma_f32 v55, v64, v38, -v150
	v_sub_f32_e32 v147, v126, v137
	v_mul_f32_e32 v61, 0xbeedf032, v146
	v_mul_f32_e32 v141, v51, v25
	;; [unrolled: 1-line block ×4, first 2 shown]
	v_fma_f32 v140, v48, v30, -v106
	v_fma_f32 v60, v52, v34, -v148
	;; [unrolled: 1-line block ×3, first 2 shown]
	v_add_f32_e32 v42, v138, v55
	v_sub_f32_e32 v153, v138, v55
	v_sub_f32_e32 v148, v127, v136
	v_mul_f32_e32 v62, 0xbf52af12, v147
	v_mov_b32_e32 v48, v61
	v_mul_f32_e32 v142, v45, v27
	v_mul_f32_e32 v143, v47, v13
	v_fma_f32 v141, v50, v24, -v141
	v_fmac_f32_e32 v130, v45, v26
	v_fmac_f32_e32 v135, v63, v32
	v_add_f32_e32 v45, v125, v139
	v_add_f32_e32 v43, v140, v54
	v_sub_f32_e32 v154, v140, v54
	v_mul_f32_e32 v64, 0xbeedf032, v153
	v_mul_f32_e32 v63, 0xbf7e222b, v148
	v_mov_b32_e32 v50, v62
	v_fmac_f32_e32 v48, 0x3f62ad3f, v42
	v_mul_f32_e32 v131, v46, v13
	v_fma_f32 v142, v44, v26, -v142
	v_fma_f32 v143, v46, v12, -v143
	v_add_f32_e32 v46, v126, v137
	v_add_f32_e32 v44, v141, v60
	v_sub_f32_e32 v155, v141, v60
	v_mul_f32_e32 v65, 0xbf52af12, v154
	v_fma_f32 v49, v45, s4, -v64
	v_mov_b32_e32 v52, v63
	v_fmac_f32_e32 v50, 0x3f116cb1, v43
	v_add_f32_e32 v48, v40, v48
	v_fmac_f32_e32 v131, v47, v12
	v_fma_f32 v56, v56, v14, -v144
	v_add_f32_e32 v47, v127, v136
	v_mul_f32_e32 v144, 0xbf7e222b, v155
	v_fma_f32 v51, v46, s5, -v65
	v_add_f32_e32 v49, v41, v49
	v_add_f32_e32 v48, v50, v48
	v_fmac_f32_e32 v52, 0x3df6dbef, v44
	v_sub_f32_e32 v156, v130, v135
	v_add_f32_e32 v49, v51, v49
	v_add_f32_e32 v51, v52, v48
	v_fma_f32 v48, v47, s6, -v144
	v_mul_f32_e32 v145, 0xbf6f5d39, v156
	v_add_f32_e32 v49, v48, v49
	v_add_f32_e32 v48, v142, v59
	v_sub_f32_e32 v160, v142, v59
	v_mov_b32_e32 v52, v145
	v_add_f32_e32 v50, v130, v135
	v_mul_f32_e32 v150, 0xbf6f5d39, v160
	v_fmac_f32_e32 v52, 0xbeb58ec6, v48
	v_sub_f32_e32 v158, v131, v134
	v_add_f32_e32 v51, v52, v51
	v_fma_f32 v52, v50, s7, -v150
	v_mul_f32_e32 v149, 0xbf29c268, v158
	v_add_f32_e32 v53, v52, v49
	v_add_f32_e32 v49, v143, v58
	v_sub_f32_e32 v161, v143, v58
	v_mov_b32_e32 v105, v149
	v_add_f32_e32 v52, v131, v134
	v_mul_f32_e32 v152, 0xbf29c268, v161
	v_fmac_f32_e32 v105, 0xbf3f9e67, v49
	v_sub_f32_e32 v159, v132, v133
	v_add_f32_e32 v105, v105, v51
	v_fma_f32 v51, v52, s16, -v152
	v_mul_f32_e32 v151, 0xbe750f2a, v159
	v_add_f32_e32 v106, v51, v53
	v_add_f32_e32 v51, v56, v57
	v_sub_f32_e32 v162, v56, v57
	v_mov_b32_e32 v163, v151
	v_add_f32_e32 v53, v132, v133
	v_mul_f32_e32 v157, 0xbe750f2a, v162
	v_fmac_f32_e32 v163, 0xbf788fa5, v51
	v_add_f32_e32 v105, v163, v105
	v_fma_f32 v163, v53, s17, -v157
	v_add_f32_e32 v106, v163, v106
	s_and_saveexec_b64 s[0:1], vcc
	s_cbranch_execz .LBB0_5
; %bb.4:
	v_mul_f32_e32 v173, 0x3df6dbef, v45
	v_mov_b32_e32 v163, v173
	v_mul_f32_e32 v174, 0xbf788fa5, v46
	v_fmac_f32_e32 v163, 0x3f7e222b, v153
	v_mov_b32_e32 v164, v174
	v_add_f32_e32 v163, v41, v163
	v_fmac_f32_e32 v164, 0x3e750f2a, v154
	v_mul_f32_e32 v187, 0xbeb58ec6, v47
	v_add_f32_e32 v163, v164, v163
	v_mov_b32_e32 v164, v187
	v_fmac_f32_e32 v164, 0xbf6f5d39, v155
	v_mul_f32_e32 v188, 0x3f62ad3f, v50
	v_add_f32_e32 v163, v164, v163
	v_mov_b32_e32 v164, v188
	v_fmac_f32_e32 v164, 0xbeedf032, v160
	v_mul_f32_e32 v189, 0x3f116cb1, v52
	v_add_f32_e32 v163, v164, v163
	v_mov_b32_e32 v164, v189
	v_fmac_f32_e32 v164, 0x3f52af12, v161
	v_mul_f32_e32 v190, 0xbf3f9e67, v53
	v_add_f32_e32 v163, v164, v163
	v_mov_b32_e32 v164, v190
	v_fmac_f32_e32 v164, 0x3f29c268, v162
	v_mul_f32_e32 v191, 0xbf7e222b, v146
	v_add_f32_e32 v164, v164, v163
	v_mov_b32_e32 v163, v191
	v_mul_f32_e32 v192, 0xbe750f2a, v147
	v_fmac_f32_e32 v163, 0x3df6dbef, v42
	v_mov_b32_e32 v165, v192
	v_add_f32_e32 v163, v40, v163
	v_fmac_f32_e32 v165, 0xbf788fa5, v43
	v_mul_f32_e32 v193, 0x3f6f5d39, v148
	v_add_f32_e32 v163, v165, v163
	v_mov_b32_e32 v165, v193
	v_fmac_f32_e32 v165, 0xbeb58ec6, v44
	v_mul_f32_e32 v194, 0x3eedf032, v156
	v_add_f32_e32 v163, v165, v163
	v_mov_b32_e32 v165, v194
	v_fmac_f32_e32 v165, 0x3f62ad3f, v48
	v_mul_f32_e32 v195, 0xbf52af12, v158
	v_add_f32_e32 v163, v165, v163
	v_mov_b32_e32 v165, v195
	v_fmac_f32_e32 v165, 0x3f116cb1, v49
	v_mul_f32_e32 v196, 0xbf29c268, v159
	v_add_f32_e32 v163, v165, v163
	v_mov_b32_e32 v165, v196
	v_fmac_f32_e32 v165, 0xbf3f9e67, v51
	v_mul_f32_e32 v169, 0xbf3f9e67, v45
	v_add_f32_e32 v163, v165, v163
	;; [unrolled: 24-line block ×3, first 2 shown]
	v_mov_b32_e32 v165, v199
	v_mul_f32_e32 v200, 0x3f7e222b, v147
	v_fmac_f32_e32 v165, 0xbf3f9e67, v42
	v_mov_b32_e32 v167, v200
	v_add_f32_e32 v165, v40, v165
	v_fmac_f32_e32 v167, 0x3df6dbef, v43
	v_mul_f32_e32 v201, 0xbf52af12, v148
	v_add_f32_e32 v165, v167, v165
	v_mov_b32_e32 v167, v201
	v_fmac_f32_e32 v167, 0x3f116cb1, v44
	v_mul_f32_e32 v202, 0x3e750f2a, v156
	v_add_f32_e32 v165, v167, v165
	v_mov_b32_e32 v167, v202
	;; [unrolled: 4-line block ×3, first 2 shown]
	v_fmac_f32_e32 v167, 0x3f62ad3f, v49
	v_mul_f32_e32 v204, 0xbf6f5d39, v159
	v_fmac_f32_e32 v169, 0xbf29c268, v153
	v_add_f32_e32 v165, v167, v165
	v_mov_b32_e32 v167, v204
	v_add_f32_e32 v169, v41, v169
	v_fmac_f32_e32 v170, 0x3f7e222b, v154
	v_fmac_f32_e32 v167, 0xbeb58ec6, v51
	v_mul_f32_e32 v205, 0xbe750f2a, v153
	v_add_f32_e32 v169, v170, v169
	v_fmac_f32_e32 v171, 0xbf52af12, v155
	v_add_f32_e32 v165, v167, v165
	v_mov_b32_e32 v167, v205
	v_mul_f32_e32 v206, 0x3eedf032, v154
	v_add_f32_e32 v169, v171, v169
	v_fmac_f32_e32 v172, 0x3e750f2a, v160
	v_fmac_f32_e32 v173, 0xbf7e222b, v153
	v_mul_f32_e32 v175, 0x3f62ad3f, v42
	v_fmac_f32_e32 v167, 0xbf788fa5, v45
	v_mov_b32_e32 v168, v206
	v_add_f32_e32 v169, v172, v169
	v_fmac_f32_e32 v197, 0x3eedf032, v161
	v_add_f32_e32 v173, v41, v173
	v_fmac_f32_e32 v174, 0xbe750f2a, v154
	v_mul_f32_e32 v177, 0x3f116cb1, v43
	v_add_f32_e32 v167, v41, v167
	v_fmac_f32_e32 v168, 0x3f62ad3f, v46
	v_mul_f32_e32 v207, 0xbf29c268, v155
	v_add_f32_e32 v169, v197, v169
	v_fmac_f32_e32 v198, 0xbf6f5d39, v162
	v_add_f32_e32 v173, v174, v173
	v_fmac_f32_e32 v187, 0x3f6f5d39, v155
	v_sub_f32_e32 v61, v175, v61
	v_mul_f32_e32 v179, 0x3df6dbef, v44
	v_add_f32_e32 v167, v168, v167
	v_mov_b32_e32 v168, v207
	v_add_f32_e32 v170, v198, v169
	v_fma_f32 v169, v42, s16, -v199
	v_add_f32_e32 v173, v187, v173
	v_fmac_f32_e32 v188, 0x3eedf032, v160
	v_add_f32_e32 v61, v40, v61
	v_sub_f32_e32 v62, v177, v62
	v_mul_f32_e32 v181, 0xbeb58ec6, v48
	v_fmac_f32_e32 v168, 0xbf3f9e67, v47
	v_mul_f32_e32 v208, 0x3f52af12, v160
	v_add_f32_e32 v169, v40, v169
	v_fma_f32 v171, v43, s6, -v200
	v_add_f32_e32 v173, v188, v173
	v_fmac_f32_e32 v189, 0xbf52af12, v161
	v_add_f32_e32 v61, v62, v61
	v_sub_f32_e32 v62, v179, v63
	v_mul_f32_e32 v183, 0xbf3f9e67, v49
	v_add_f32_e32 v167, v168, v167
	v_mov_b32_e32 v168, v208
	v_add_f32_e32 v169, v171, v169
	v_fma_f32 v171, v44, s5, -v201
	v_add_f32_e32 v173, v189, v173
	v_fmac_f32_e32 v190, 0xbf29c268, v162
	v_add_f32_e32 v61, v62, v61
	v_sub_f32_e32 v62, v181, v145
	v_mul_f32_e32 v185, 0xbf788fa5, v51
	v_fmac_f32_e32 v168, 0x3f116cb1, v50
	v_mul_f32_e32 v209, 0xbf6f5d39, v161
	v_add_f32_e32 v169, v171, v169
	v_fma_f32 v171, v48, s17, -v202
	v_add_f32_e32 v174, v190, v173
	v_fma_f32 v173, v42, s6, -v191
	v_add_f32_e32 v61, v62, v61
	v_sub_f32_e32 v62, v183, v149
	v_add_f32_e32 v167, v168, v167
	v_mov_b32_e32 v168, v209
	v_add_f32_e32 v169, v171, v169
	v_fma_f32 v171, v49, s4, -v203
	v_add_f32_e32 v173, v40, v173
	v_fma_f32 v187, v43, s17, -v192
	v_add_f32_e32 v61, v62, v61
	v_sub_f32_e32 v62, v185, v151
	v_fmac_f32_e32 v168, 0xbeb58ec6, v52
	v_mul_f32_e32 v210, 0x3f7e222b, v162
	v_add_f32_e32 v169, v171, v169
	v_fma_f32 v171, v51, s7, -v204
	v_mul_f32_e32 v197, 0xbf6f5d39, v153
	v_add_f32_e32 v173, v187, v173
	v_fma_f32 v187, v44, s7, -v193
	v_add_f32_e32 v63, v62, v61
	v_add_f32_e32 v62, v40, v138
	;; [unrolled: 1-line block ×3, first 2 shown]
	v_mov_b32_e32 v168, v210
	v_add_f32_e32 v169, v171, v169
	v_mov_b32_e32 v171, v197
	v_mul_f32_e32 v198, 0x3f29c268, v154
	v_add_f32_e32 v173, v187, v173
	v_fma_f32 v187, v48, s4, -v194
	v_add_f32_e32 v62, v62, v140
	v_fmac_f32_e32 v168, 0x3df6dbef, v53
	v_mul_f32_e32 v211, 0xbe750f2a, v146
	v_fmac_f32_e32 v171, 0xbeb58ec6, v45
	v_mov_b32_e32 v172, v198
	v_add_f32_e32 v173, v187, v173
	v_fma_f32 v187, v49, s5, -v195
	v_add_f32_e32 v62, v62, v141
	v_add_f32_e32 v168, v168, v167
	v_fma_f32 v167, v42, s17, -v211
	v_mul_f32_e32 v212, 0x3eedf032, v147
	v_add_f32_e32 v171, v41, v171
	v_fmac_f32_e32 v172, 0xbf3f9e67, v46
	v_mul_f32_e32 v199, 0x3eedf032, v155
	v_add_f32_e32 v173, v187, v173
	v_fma_f32 v187, v51, s16, -v196
	v_add_f32_e32 v62, v62, v142
	v_add_f32_e32 v167, v40, v167
	v_fma_f32 v213, v43, s4, -v212
	v_add_f32_e32 v171, v172, v171
	v_mov_b32_e32 v172, v199
	v_add_f32_e32 v173, v187, v173
	v_mul_f32_e32 v187, 0xbf52af12, v153
	v_add_f32_e32 v62, v62, v143
	v_add_f32_e32 v167, v213, v167
	v_mul_f32_e32 v213, 0xbf29c268, v148
	v_fmac_f32_e32 v172, 0x3f62ad3f, v47
	v_mul_f32_e32 v200, 0xbf7e222b, v160
	v_mov_b32_e32 v153, v187
	v_mul_f32_e32 v188, 0xbf6f5d39, v154
	v_add_f32_e32 v56, v62, v56
	v_fma_f32 v214, v44, s16, -v213
	v_add_f32_e32 v171, v172, v171
	v_mov_b32_e32 v172, v200
	v_fmac_f32_e32 v153, 0x3f116cb1, v45
	v_mov_b32_e32 v154, v188
	v_add_f32_e32 v56, v56, v57
	v_add_f32_e32 v167, v214, v167
	v_mul_f32_e32 v214, 0x3f52af12, v156
	v_fmac_f32_e32 v172, 0x3df6dbef, v50
	v_mul_f32_e32 v201, 0x3e750f2a, v161
	v_add_f32_e32 v153, v41, v153
	v_fmac_f32_e32 v154, 0xbeb58ec6, v46
	v_mul_f32_e32 v155, 0xbe750f2a, v155
	v_add_f32_e32 v56, v56, v58
	v_fma_f32 v215, v48, s5, -v214
	v_add_f32_e32 v171, v172, v171
	v_mov_b32_e32 v172, v201
	v_add_f32_e32 v153, v154, v153
	v_mov_b32_e32 v154, v155
	v_add_f32_e32 v56, v56, v59
	v_add_f32_e32 v167, v215, v167
	v_mul_f32_e32 v215, 0xbf6f5d39, v158
	v_fmac_f32_e32 v172, 0xbf788fa5, v52
	v_mul_f32_e32 v202, 0x3f52af12, v162
	v_fmac_f32_e32 v154, 0xbf788fa5, v47
	v_mul_f32_e32 v160, 0x3f29c268, v160
	v_add_f32_e32 v56, v56, v60
	v_fma_f32 v216, v49, s7, -v215
	v_add_f32_e32 v171, v172, v171
	v_mov_b32_e32 v172, v202
	v_add_f32_e32 v153, v154, v153
	v_mov_b32_e32 v154, v160
	v_add_f32_e32 v61, v41, v125
	v_add_f32_e32 v54, v56, v54
	;; [unrolled: 1-line block ×3, first 2 shown]
	v_mul_f32_e32 v216, 0x3f7e222b, v159
	v_fmac_f32_e32 v172, 0x3f116cb1, v53
	v_mul_f32_e32 v203, 0xbf6f5d39, v146
	v_fmac_f32_e32 v154, 0xbf3f9e67, v50
	v_mul_f32_e32 v161, 0x3f7e222b, v161
	v_add_f32_e32 v61, v61, v126
	v_add_f32_e32 v60, v54, v55
	v_fma_f32 v54, v45, s17, -v205
	v_fma_f32 v56, v45, s7, -v197
	v_fma_f32 v217, v51, s6, -v216
	v_add_f32_e32 v172, v172, v171
	v_fma_f32 v171, v42, s7, -v203
	v_mul_f32_e32 v204, 0x3f29c268, v147
	v_add_f32_e32 v153, v154, v153
	v_mov_b32_e32 v154, v161
	v_add_f32_e32 v61, v61, v127
	v_add_f32_e32 v54, v41, v54
	v_fma_f32 v55, v46, s4, -v206
	v_add_f32_e32 v56, v41, v56
	v_fma_f32 v57, v46, s16, -v198
	v_add_f32_e32 v167, v217, v167
	v_add_f32_e32 v171, v40, v171
	v_fma_f32 v217, v43, s16, -v204
	v_fmac_f32_e32 v154, 0x3df6dbef, v52
	v_mul_f32_e32 v162, 0x3eedf032, v162
	v_add_f32_e32 v61, v61, v130
	v_add_f32_e32 v54, v55, v54
	v_fma_f32 v55, v47, s16, -v207
	v_add_f32_e32 v56, v57, v56
	v_fma_f32 v57, v47, s4, -v199
	v_mul_f32_e32 v176, 0x3f62ad3f, v45
	v_add_f32_e32 v171, v217, v171
	v_mul_f32_e32 v217, 0x3eedf032, v148
	v_add_f32_e32 v153, v154, v153
	v_mov_b32_e32 v154, v162
	v_add_f32_e32 v61, v61, v131
	v_add_f32_e32 v54, v55, v54
	v_fma_f32 v55, v50, s5, -v208
	v_add_f32_e32 v56, v57, v56
	v_fma_f32 v57, v50, s6, -v200
	v_mul_f32_e32 v178, 0x3f116cb1, v46
	v_fma_f32 v218, v44, s4, -v217
	v_fmac_f32_e32 v154, 0x3f62ad3f, v53
	v_mul_f32_e32 v146, 0xbf52af12, v146
	v_add_f32_e32 v64, v64, v176
	v_add_f32_e32 v61, v61, v132
	;; [unrolled: 1-line block ×3, first 2 shown]
	v_fma_f32 v55, v52, s7, -v209
	v_add_f32_e32 v56, v57, v56
	v_fma_f32 v57, v52, s17, -v201
	v_mul_f32_e32 v180, 0x3df6dbef, v47
	v_add_f32_e32 v171, v218, v171
	v_mul_f32_e32 v218, 0xbf7e222b, v156
	v_add_f32_e32 v154, v154, v153
	v_fma_f32 v153, v42, s5, -v146
	v_mul_f32_e32 v147, 0xbf6f5d39, v147
	v_add_f32_e32 v64, v41, v64
	v_add_f32_e32 v65, v65, v178
	v_add_f32_e32 v61, v61, v133
	v_add_f32_e32 v54, v55, v54
	v_fma_f32 v55, v53, s6, -v210
	v_fmac_f32_e32 v211, 0xbf788fa5, v42
	v_add_f32_e32 v56, v57, v56
	v_fma_f32 v57, v53, s5, -v202
	v_fmac_f32_e32 v203, 0xbeb58ec6, v42
	v_fma_f32 v45, v45, s5, -v187
	v_fmac_f32_e32 v146, 0x3f116cb1, v42
	v_mul_f32_e32 v182, 0xbeb58ec6, v50
	v_fma_f32 v219, v48, s6, -v218
	v_add_f32_e32 v153, v40, v153
	v_fma_f32 v189, v43, s7, -v147
	v_mul_f32_e32 v148, 0xbe750f2a, v148
	v_add_f32_e32 v64, v65, v64
	v_add_f32_e32 v65, v144, v180
	v_add_f32_e32 v61, v61, v134
	v_add_f32_e32 v55, v55, v54
	v_add_f32_e32 v54, v40, v211
	v_fmac_f32_e32 v212, 0x3f62ad3f, v43
	v_add_f32_e32 v57, v57, v56
	v_add_f32_e32 v56, v40, v203
	v_fmac_f32_e32 v204, 0xbf3f9e67, v43
	v_add_f32_e32 v41, v41, v45
	v_fma_f32 v45, v46, s7, -v188
	v_add_f32_e32 v40, v40, v146
	v_fmac_f32_e32 v147, 0xbeb58ec6, v43
	v_mul_f32_e32 v184, 0xbf3f9e67, v52
	v_add_f32_e32 v171, v219, v171
	v_mul_f32_e32 v219, 0x3e750f2a, v158
	v_add_f32_e32 v153, v189, v153
	v_fma_f32 v189, v44, s17, -v148
	v_mul_f32_e32 v156, 0x3f29c268, v156
	v_add_f32_e32 v64, v65, v64
	v_add_f32_e32 v65, v150, v182
	;; [unrolled: 1-line block ×4, first 2 shown]
	v_fmac_f32_e32 v213, 0xbf3f9e67, v44
	v_add_f32_e32 v56, v204, v56
	v_fmac_f32_e32 v217, 0x3f62ad3f, v44
	v_add_f32_e32 v41, v45, v41
	v_fma_f32 v45, v47, s17, -v155
	v_add_f32_e32 v40, v147, v40
	v_fmac_f32_e32 v148, 0xbf788fa5, v44
	v_mul_f32_e32 v186, 0xbf788fa5, v53
	v_fma_f32 v220, v49, s17, -v219
	v_add_f32_e32 v153, v189, v153
	v_fma_f32 v189, v48, s16, -v156
	v_mul_f32_e32 v158, 0x3f7e222b, v158
	v_add_f32_e32 v64, v65, v64
	v_add_f32_e32 v65, v152, v184
	;; [unrolled: 1-line block ×4, first 2 shown]
	v_fmac_f32_e32 v214, 0x3f116cb1, v48
	v_add_f32_e32 v56, v217, v56
	v_fmac_f32_e32 v218, 0x3df6dbef, v48
	v_add_f32_e32 v41, v45, v41
	v_fma_f32 v45, v50, s16, -v160
	v_add_f32_e32 v40, v148, v40
	v_fmac_f32_e32 v156, 0xbf3f9e67, v48
	v_add_f32_e32 v171, v220, v171
	v_mul_f32_e32 v220, 0x3f52af12, v159
	v_add_f32_e32 v153, v189, v153
	v_fma_f32 v189, v49, s6, -v158
	v_mul_f32_e32 v159, 0x3eedf032, v159
	v_add_f32_e32 v64, v65, v64
	v_add_f32_e32 v65, v157, v186
	;; [unrolled: 1-line block ×4, first 2 shown]
	v_fmac_f32_e32 v215, 0xbeb58ec6, v49
	v_add_f32_e32 v56, v218, v56
	v_fmac_f32_e32 v219, 0xbf788fa5, v49
	v_add_f32_e32 v41, v45, v41
	v_fma_f32 v45, v52, s6, -v161
	v_add_f32_e32 v40, v156, v40
	v_fmac_f32_e32 v158, 0x3df6dbef, v49
	v_mul_u32_u24_e32 v42, 0x9c, v109
	v_fma_f32 v221, v51, s5, -v220
	v_add_f32_e32 v153, v189, v153
	v_fma_f32 v189, v51, s4, -v159
	v_add_f32_e32 v64, v65, v64
	v_add_f32_e32 v61, v61, v139
	v_add_f32_e32 v54, v215, v54
	v_fmac_f32_e32 v216, 0x3df6dbef, v51
	v_add_f32_e32 v56, v219, v56
	v_fmac_f32_e32 v220, 0x3f116cb1, v51
	v_add_f32_e32 v41, v45, v41
	v_fma_f32 v45, v53, s4, -v162
	v_add_f32_e32 v40, v158, v40
	v_fmac_f32_e32 v159, 0x3f62ad3f, v51
	v_add_lshl_u32 v42, v42, v110, 3
	v_add_f32_e32 v171, v221, v171
	v_add_f32_e32 v153, v189, v153
	;; [unrolled: 1-line block ×6, first 2 shown]
	ds_write2_b64 v42, v[60:61], v[63:64] offset1:12
	ds_write2_b64 v42, v[153:154], v[173:174] offset0:24 offset1:36
	ds_write2_b64 v42, v[171:172], v[169:170] offset0:48 offset1:60
	ds_write2_b64 v42, v[167:168], v[54:55] offset0:72 offset1:84
	ds_write2_b64 v42, v[165:166], v[56:57] offset0:96 offset1:108
	ds_write2_b64 v42, v[163:164], v[40:41] offset0:120 offset1:132
	ds_write_b64 v42, v[105:106] offset:1152
.LBB0_5:
	s_or_b64 exec, exec, s[0:1]
	s_movk_i32 s0, 0xffd9
	v_add_co_u32_e64 v44, s[0:1], s0, v107
	v_addc_co_u32_e64 v45, s[0:1], 0, -1, s[0:1]
	v_cmp_gt_u16_e64 s[0:1], 39, v107
	v_lshrrev_b16_e32 v48, 2, v66
	v_cndmask_b32_e64 v65, v45, v70, s[0:1]
	v_cndmask_b32_e64 v64, v44, v69, s[0:1]
	v_mul_u32_u24_e32 v48, 0xd21, v48
	v_lshlrev_b64 v[44:45], 4, v[64:65]
	v_lshrrev_b32_e32 v65, 17, v48
	v_lshrrev_b16_e32 v52, 2, v68
	v_mul_lo_u16_e32 v48, 0x9c, v65
	v_mul_u32_u24_e32 v52, 0xd21, v52
	v_mov_b32_e32 v53, s15
	v_add_co_u32_e64 v44, s[0:1], s14, v44
	v_sub_u16_e32 v70, v66, v48
	v_lshrrev_b32_e32 v52, 17, v52
	v_addc_co_u32_e64 v45, s[0:1], v53, v45, s[0:1]
	v_lshlrev_b16_e32 v48, 4, v70
	v_mul_lo_u16_e32 v52, 0x9c, v52
	s_waitcnt lgkmcnt(0)
	s_barrier
	global_load_dwordx4 v[40:43], v67, s[14:15] offset:1232
	v_add_co_u32_e64 v48, s[0:1], s14, v48
	global_load_dwordx4 v[44:47], v[44:45], off offset:1232
	v_sub_u16_e32 v151, v68, v52
	v_addc_co_u32_e64 v49, s[0:1], 0, v53, s[0:1]
	v_lshlrev_b16_e32 v52, 4, v151
	v_add_co_u32_e64 v52, s[0:1], s14, v52
	v_addc_co_u32_e64 v53, s[0:1], 0, v53, s[0:1]
	global_load_dwordx4 v[48:51], v[48:49], off offset:1232
	v_add_u32_e32 v130, 0xc00, v108
	global_load_dwordx4 v[52:55], v[52:53], off offset:1232
	ds_read2_b64 v[56:59], v108 offset1:117
	v_add_u32_e32 v134, 0x1c00, v108
	v_add_u32_e32 v131, 0x400, v108
	;; [unrolled: 1-line block ×4, first 2 shown]
	ds_read2_b64 v[60:63], v130 offset0:84 offset1:201
	ds_read2_b64 v[135:138], v134 offset0:40 offset1:157
	;; [unrolled: 1-line block ×5, first 2 shown]
	s_waitcnt vmcnt(0) lgkmcnt(0)
	s_barrier
	v_cmp_lt_u16_e64 s[0:1], 38, v107
	s_movk_i32 s4, 0x1d4
	v_mul_f32_e32 v68, v61, v41
	v_mul_f32_e32 v125, v136, v43
	;; [unrolled: 1-line block ×3, first 2 shown]
	v_fma_f32 v68, v60, v40, -v68
	v_fma_f32 v125, v135, v42, -v125
	v_fmac_f32_e32 v69, v61, v40
	v_add_f32_e32 v61, v68, v125
	v_mul_f32_e32 v126, v135, v43
	v_add_f32_e32 v60, v56, v68
	v_fma_f32 v56, -0.5, v61, v56
	v_mul_f32_e32 v61, v63, v45
	v_mul_f32_e32 v135, v62, v45
	;; [unrolled: 1-line block ×3, first 2 shown]
	v_fmac_f32_e32 v126, v136, v42
	v_mul_f32_e32 v136, v138, v47
	v_fma_f32 v153, v62, v44, -v61
	v_fmac_f32_e32 v135, v63, v44
	v_fmac_f32_e32 v152, v138, v46
	v_mul_f32_e32 v138, v143, v49
	v_mul_f32_e32 v62, v148, v51
	;; [unrolled: 1-line block ×5, first 2 shown]
	v_fmac_f32_e32 v138, v144, v48
	v_fma_f32 v144, v147, v50, -v62
	v_fma_f32 v147, v145, v52, -v63
	v_add_f32_e32 v63, v69, v126
	v_fma_f32 v136, v137, v46, -v136
	v_fma_f32 v143, v143, v48, -v61
	v_add_f32_e32 v61, v57, v69
	v_fma_f32 v57, -0.5, v63, v57
	v_sub_f32_e32 v127, v69, v126
	v_sub_f32_e32 v68, v68, v125
	v_mov_b32_e32 v63, v57
	v_add_f32_e32 v69, v153, v136
	v_fmac_f32_e32 v63, 0xbf5db3d7, v68
	v_fmac_f32_e32 v57, 0x3f5db3d7, v68
	v_add_f32_e32 v68, v58, v153
	v_fma_f32 v58, -0.5, v69, v58
	v_add_f32_e32 v60, v60, v125
	v_add_f32_e32 v61, v61, v126
	v_sub_f32_e32 v69, v135, v152
	v_mov_b32_e32 v126, v58
	v_add_f32_e32 v125, v135, v152
	v_mov_b32_e32 v62, v56
	v_fmac_f32_e32 v126, 0x3f5db3d7, v69
	v_fmac_f32_e32 v58, 0xbf5db3d7, v69
	v_add_f32_e32 v69, v59, v135
	v_fmac_f32_e32 v59, -0.5, v125
	v_fmac_f32_e32 v62, 0x3f5db3d7, v127
	v_fmac_f32_e32 v56, 0xbf5db3d7, v127
	v_sub_f32_e32 v125, v153, v136
	v_mov_b32_e32 v127, v59
	v_fmac_f32_e32 v127, 0xbf5db3d7, v125
	v_fmac_f32_e32 v59, 0x3f5db3d7, v125
	v_add_f32_e32 v125, v139, v143
	v_mul_f32_e32 v155, v145, v53
	v_mul_f32_e32 v137, v150, v55
	v_add_f32_e32 v135, v125, v144
	v_add_f32_e32 v125, v143, v144
	v_fmac_f32_e32 v154, v148, v50
	v_fmac_f32_e32 v155, v146, v52
	v_fma_f32 v146, v149, v54, -v137
	v_fma_f32 v137, -0.5, v125, v139
	v_sub_f32_e32 v125, v138, v154
	v_mov_b32_e32 v139, v137
	v_fmac_f32_e32 v139, 0x3f5db3d7, v125
	v_fmac_f32_e32 v137, 0xbf5db3d7, v125
	v_add_f32_e32 v125, v140, v138
	v_add_f32_e32 v68, v68, v136
	v_add_f32_e32 v136, v125, v154
	v_add_f32_e32 v125, v138, v154
	v_fma_f32 v138, -0.5, v125, v140
	v_sub_f32_e32 v125, v143, v144
	v_mov_b32_e32 v140, v138
	v_fmac_f32_e32 v140, 0xbf5db3d7, v125
	v_fmac_f32_e32 v138, 0x3f5db3d7, v125
	v_add_f32_e32 v125, v141, v147
	v_mul_f32_e32 v156, v149, v55
	v_add_f32_e32 v143, v125, v146
	v_add_f32_e32 v125, v147, v146
	v_fmac_f32_e32 v156, v150, v54
	v_fma_f32 v141, -0.5, v125, v141
	v_sub_f32_e32 v125, v155, v156
	v_mov_b32_e32 v145, v141
	v_fmac_f32_e32 v145, 0x3f5db3d7, v125
	v_fmac_f32_e32 v141, 0xbf5db3d7, v125
	v_add_f32_e32 v125, v142, v155
	v_add_f32_e32 v144, v125, v156
	;; [unrolled: 1-line block ×3, first 2 shown]
	v_fmac_f32_e32 v142, -0.5, v125
	ds_write2_b64 v108, v[60:61], v[62:63] offset1:156
	ds_write_b64 v108, v[56:57] offset:2496
	v_mov_b32_e32 v56, 0x1d4
	v_sub_f32_e32 v125, v147, v146
	v_mov_b32_e32 v146, v142
	v_cndmask_b32_e64 v56, 0, v56, s[0:1]
	v_add_f32_e32 v69, v69, v152
	v_fmac_f32_e32 v146, 0xbf5db3d7, v125
	v_fmac_f32_e32 v142, 0x3f5db3d7, v125
	v_add_lshl_u32 v125, v64, v56, 3
	ds_write2_b64 v125, v[68:69], v[126:127] offset1:156
	ds_write_b64 v125, v[58:59] offset:2496
	v_mad_legacy_u16 v56, v65, s4, v70
	v_lshlrev_b32_e32 v127, 3, v151
	v_lshlrev_b32_e32 v126, 3, v56
	v_add_u32_e32 v56, 0x1c00, v127
	ds_write2_b64 v126, v[135:136], v[139:140] offset1:156
	ds_write_b64 v126, v[137:138] offset:2496
	ds_write2_b64 v56, v[143:144], v[145:146] offset0:40 offset1:196
	ds_write_b64 v127, v[141:142] offset:9984
	s_waitcnt lgkmcnt(0)
	s_barrier
	global_load_dwordx4 v[56:59], v67, s[14:15] offset:3728
	v_lshlrev_b32_e32 v60, 3, v71
	global_load_dwordx4 v[60:63], v60, s[14:15] offset:3728
	v_lshlrev_b32_e32 v64, 4, v66
	global_load_dwordx4 v[64:67], v64, s[14:15] offset:3728
	s_nop 0
	global_load_dwordx4 v[68:71], v112, s[14:15] offset:3728
	v_lshlrev_b32_e32 v135, 3, v107
	v_mov_b32_e32 v136, s13
	v_add_co_u32_e64 v162, s[0:1], s12, v135
	v_addc_co_u32_e64 v163, s[0:1], 0, v136, s[0:1]
	ds_read2_b64 v[135:138], v108 offset1:117
	ds_read2_b64 v[139:142], v130 offset0:84 offset1:201
	ds_read2_b64 v[143:146], v134 offset0:40 offset1:157
	;; [unrolled: 1-line block ×5, first 2 shown]
	s_movk_i32 s0, 0x2000
	s_movk_i32 s4, 0x2be0
	s_waitcnt vmcnt(3) lgkmcnt(4)
	v_mul_f32_e32 v159, v140, v57
	v_fma_f32 v159, v139, v56, -v159
	v_mul_f32_e32 v160, v139, v57
	s_waitcnt lgkmcnt(3)
	v_mul_f32_e32 v139, v144, v59
	v_fma_f32 v161, v143, v58, -v139
	s_waitcnt vmcnt(2)
	v_mul_f32_e32 v139, v142, v61
	v_fma_f32 v164, v141, v60, -v139
	v_mul_f32_e32 v139, v146, v63
	v_fma_f32 v166, v145, v62, -v139
	s_waitcnt vmcnt(1) lgkmcnt(1)
	v_mul_f32_e32 v139, v152, v65
	v_fma_f32 v168, v151, v64, -v139
	s_waitcnt lgkmcnt(0)
	v_mul_f32_e32 v139, v156, v67
	v_fma_f32 v170, v155, v66, -v139
	s_waitcnt vmcnt(0)
	v_mul_f32_e32 v139, v154, v69
	v_fmac_f32_e32 v160, v140, v56
	v_mul_f32_e32 v143, v143, v59
	v_fma_f32 v171, v153, v68, -v139
	v_mul_f32_e32 v139, v158, v71
	v_add_f32_e32 v140, v159, v161
	v_fmac_f32_e32 v143, v144, v58
	v_mul_f32_e32 v165, v141, v61
	v_fma_f32 v173, v157, v70, -v139
	v_add_f32_e32 v139, v135, v159
	v_fma_f32 v135, -0.5, v140, v135
	v_fmac_f32_e32 v165, v142, v60
	v_sub_f32_e32 v140, v160, v143
	v_mov_b32_e32 v141, v135
	v_add_f32_e32 v142, v160, v143
	v_fmac_f32_e32 v141, 0x3f5db3d7, v140
	v_fmac_f32_e32 v135, 0xbf5db3d7, v140
	v_add_f32_e32 v140, v136, v160
	v_fma_f32 v136, -0.5, v142, v136
	v_mul_f32_e32 v167, v145, v63
	v_add_f32_e32 v140, v140, v143
	v_sub_f32_e32 v143, v159, v161
	v_mov_b32_e32 v142, v136
	v_add_f32_e32 v144, v164, v166
	v_fmac_f32_e32 v167, v146, v62
	v_fmac_f32_e32 v142, 0xbf5db3d7, v143
	;; [unrolled: 1-line block ×3, first 2 shown]
	v_add_f32_e32 v143, v137, v164
	v_fma_f32 v137, -0.5, v144, v137
	v_sub_f32_e32 v144, v165, v167
	v_mov_b32_e32 v145, v137
	v_add_f32_e32 v146, v165, v167
	v_mul_f32_e32 v169, v151, v65
	v_fmac_f32_e32 v145, 0x3f5db3d7, v144
	v_fmac_f32_e32 v137, 0xbf5db3d7, v144
	v_add_f32_e32 v144, v138, v165
	v_fmac_f32_e32 v138, -0.5, v146
	v_fmac_f32_e32 v169, v152, v64
	v_mul_f32_e32 v155, v155, v67
	v_sub_f32_e32 v151, v164, v166
	v_mov_b32_e32 v146, v138
	v_add_f32_e32 v152, v168, v170
	v_fmac_f32_e32 v155, v156, v66
	v_mul_f32_e32 v172, v153, v69
	v_fmac_f32_e32 v146, 0xbf5db3d7, v151
	v_fmac_f32_e32 v138, 0x3f5db3d7, v151
	v_add_f32_e32 v151, v147, v168
	v_fma_f32 v147, -0.5, v152, v147
	v_fmac_f32_e32 v172, v154, v68
	v_sub_f32_e32 v152, v169, v155
	v_mov_b32_e32 v153, v147
	v_add_f32_e32 v154, v169, v155
	v_fmac_f32_e32 v153, 0x3f5db3d7, v152
	v_fmac_f32_e32 v147, 0xbf5db3d7, v152
	v_add_f32_e32 v152, v148, v169
	v_fma_f32 v148, -0.5, v154, v148
	v_mul_f32_e32 v174, v157, v71
	v_add_f32_e32 v152, v152, v155
	v_sub_f32_e32 v155, v168, v170
	v_mov_b32_e32 v154, v148
	v_add_f32_e32 v156, v171, v173
	v_fmac_f32_e32 v174, v158, v70
	v_fmac_f32_e32 v154, 0xbf5db3d7, v155
	v_fmac_f32_e32 v148, 0x3f5db3d7, v155
	v_add_f32_e32 v155, v149, v171
	v_fma_f32 v149, -0.5, v156, v149
	v_sub_f32_e32 v156, v172, v174
	v_mov_b32_e32 v157, v149
	v_add_f32_e32 v158, v172, v174
	v_add_f32_e32 v139, v139, v161
	;; [unrolled: 1-line block ×4, first 2 shown]
	v_fmac_f32_e32 v157, 0x3f5db3d7, v156
	v_fmac_f32_e32 v149, 0xbf5db3d7, v156
	v_add_f32_e32 v156, v150, v172
	v_fmac_f32_e32 v150, -0.5, v158
	ds_write_b64 v108, v[141:142] offset:3744
	ds_write_b64 v108, v[135:136] offset:7488
	ds_write2_b64 v108, v[139:140], v[143:144] offset1:117
	ds_write_b64 v108, v[137:138] offset:8424
	v_add_co_u32_e64 v136, s[0:1], s0, v162
	v_sub_f32_e32 v159, v171, v173
	v_mov_b32_e32 v158, v150
	v_add_u32_e32 v135, 0x1000, v108
	v_addc_co_u32_e64 v137, s[0:1], 0, v163, s[0:1]
	v_add_f32_e32 v151, v151, v170
	v_add_f32_e32 v155, v155, v173
	;; [unrolled: 1-line block ×3, first 2 shown]
	v_fmac_f32_e32 v158, 0xbf5db3d7, v159
	v_fmac_f32_e32 v150, 0x3f5db3d7, v159
	ds_write2_b64 v135, v[145:146], v[153:154] offset0:73 offset1:190
	ds_write2_b64 v131, v[151:152], v[155:156] offset0:106 offset1:223
	ds_write_b64 v108, v[157:158] offset:6552
	ds_write2_b64 v132, v[147:148], v[149:150] offset0:18 offset1:135
	s_waitcnt lgkmcnt(0)
	s_barrier
	global_load_dwordx2 v[140:141], v[136:137], off offset:3040
	s_movk_i32 s0, 0x4000
	v_add_co_u32_e64 v136, s[0:1], s0, v162
	v_addc_co_u32_e64 v137, s[0:1], 0, v163, s[0:1]
	global_load_dwordx2 v[144:145], v[136:137], off offset:464
	v_add_co_u32_e64 v138, s[0:1], s4, v162
	v_addc_co_u32_e64 v139, s[0:1], 0, v163, s[0:1]
	global_load_dwordx2 v[146:147], v[138:139], off offset:936
	global_load_dwordx2 v[148:149], v[136:137], off offset:1400
	;; [unrolled: 1-line block ×7, first 2 shown]
	s_movk_i32 s0, 0x5000
	v_add_co_u32_e64 v136, s[0:1], s0, v162
	v_addc_co_u32_e64 v137, s[0:1], 0, v163, s[0:1]
	s_movk_i32 s0, 0x3000
	v_add_co_u32_e64 v138, s[0:1], s0, v162
	v_addc_co_u32_e64 v139, s[0:1], 0, v163, s[0:1]
	global_load_dwordx2 v[160:161], v[136:137], off offset:112
	global_load_dwordx2 v[162:163], v[138:139], off offset:3624
	;; [unrolled: 1-line block ×3, first 2 shown]
	ds_read2_b64 v[136:139], v108 offset1:117
	s_waitcnt vmcnt(11) lgkmcnt(0)
	v_mul_f32_e32 v142, v137, v141
	v_mul_f32_e32 v143, v136, v141
	v_fma_f32 v142, v136, v140, -v142
	v_fmac_f32_e32 v143, v137, v140
	ds_write_b64 v108, v[142:143]
	ds_read2_b64 v[140:143], v133 offset0:62 offset1:179
	s_waitcnt vmcnt(10) lgkmcnt(0)
	v_mul_f32_e32 v136, v141, v145
	v_fma_f32 v166, v140, v144, -v136
	v_mul_f32_e32 v167, v140, v145
	s_waitcnt vmcnt(9)
	v_mul_f32_e32 v136, v139, v147
	v_mul_f32_e32 v145, v138, v147
	v_fmac_f32_e32 v167, v141, v144
	v_fma_f32 v144, v138, v146, -v136
	v_fmac_f32_e32 v145, v139, v146
	ds_read2_b64 v[136:139], v131 offset0:106 offset1:223
	s_waitcnt vmcnt(8)
	v_mul_f32_e32 v140, v143, v149
	v_mul_f32_e32 v147, v142, v149
	v_fma_f32 v146, v142, v148, -v140
	v_fmac_f32_e32 v147, v143, v148
	ds_read2_b64 v[140:143], v134 offset0:40 offset1:157
	s_waitcnt vmcnt(7) lgkmcnt(1)
	v_mul_f32_e32 v148, v137, v151
	v_mul_f32_e32 v149, v136, v151
	v_fma_f32 v148, v136, v150, -v148
	v_fmac_f32_e32 v149, v137, v150
	ds_write2_b64 v108, v[144:145], v[148:149] offset0:117 offset1:234
	s_waitcnt vmcnt(6) lgkmcnt(1)
	v_mul_f32_e32 v136, v141, v153
	v_mul_f32_e32 v145, v140, v153
	v_fma_f32 v144, v140, v152, -v136
	v_fmac_f32_e32 v145, v141, v152
	v_add_u32_e32 v136, 0x1800, v108
	ds_write2_b64 v136, v[146:147], v[144:145] offset0:51 offset1:168
	s_waitcnt vmcnt(5)
	v_mul_f32_e32 v137, v139, v155
	v_mul_f32_e32 v146, v138, v155
	v_fma_f32 v145, v138, v154, -v137
	v_fmac_f32_e32 v146, v139, v154
	ds_read2_b64 v[137:140], v130 offset0:84 offset1:201
	s_waitcnt vmcnt(4)
	v_mul_f32_e32 v141, v143, v157
	v_fma_f32 v147, v142, v156, -v141
	v_mul_f32_e32 v148, v142, v157
	v_fmac_f32_e32 v148, v143, v156
	s_waitcnt vmcnt(3) lgkmcnt(0)
	v_mul_f32_e32 v141, v138, v159
	v_fma_f32 v149, v137, v158, -v141
	ds_read2_b64 v[141:144], v132 offset0:18 offset1:135
	v_mul_f32_e32 v150, v137, v159
	v_fmac_f32_e32 v150, v138, v158
	s_waitcnt vmcnt(1)
	v_mul_f32_e32 v138, v140, v163
	v_fma_f32 v138, v139, v162, -v138
	v_mul_f32_e32 v139, v139, v163
	v_add_u32_e32 v137, 0x800, v108
	v_fmac_f32_e32 v139, v140, v162
	ds_write2_b64 v137, v[145:146], v[149:150] offset0:95 offset1:212
	s_waitcnt lgkmcnt(1)
	v_mul_f32_e32 v137, v142, v161
	v_mul_f32_e32 v146, v141, v161
	ds_write2_b64 v135, v[138:139], v[166:167] offset0:73 offset1:190
	s_waitcnt vmcnt(0)
	v_mul_f32_e32 v138, v144, v165
	v_mul_f32_e32 v139, v143, v165
	v_fma_f32 v145, v141, v160, -v137
	v_fmac_f32_e32 v146, v142, v160
	v_add_u32_e32 v137, 0x2000, v108
	v_fma_f32 v138, v143, v164, -v138
	v_fmac_f32_e32 v139, v144, v164
	ds_write2_b64 v137, v[147:148], v[145:146] offset0:29 offset1:146
	ds_write_b64 v108, v[138:139] offset:10296
	s_waitcnt lgkmcnt(0)
	s_barrier
	ds_read2_b64 v[138:141], v108 offset1:117
	ds_read2_b64 v[142:145], v133 offset0:62 offset1:179
	ds_read2_b64 v[146:149], v131 offset0:106 offset1:223
	;; [unrolled: 1-line block ×5, first 2 shown]
	s_waitcnt lgkmcnt(4)
	v_sub_f32_e32 v164, v138, v142
	v_sub_f32_e32 v165, v139, v143
	s_waitcnt lgkmcnt(2)
	v_sub_f32_e32 v168, v146, v150
	v_sub_f32_e32 v169, v147, v151
	v_fma_f32 v166, v146, 2.0, -v168
	v_fma_f32 v167, v147, 2.0, -v169
	v_sub_f32_e32 v146, v148, v152
	v_sub_f32_e32 v147, v149, v153
	s_waitcnt lgkmcnt(0)
	v_sub_f32_e32 v150, v154, v158
	v_sub_f32_e32 v151, v155, v159
	;; [unrolled: 1-line block ×4, first 2 shown]
	v_fma_f32 v144, v148, 2.0, -v146
	v_fma_f32 v145, v149, 2.0, -v147
	;; [unrolled: 1-line block ×4, first 2 shown]
	v_sub_f32_e32 v154, v156, v160
	v_sub_f32_e32 v155, v157, v161
	v_fma_f32 v162, v138, 2.0, -v164
	v_fma_f32 v163, v139, 2.0, -v165
	;; [unrolled: 1-line block ×6, first 2 shown]
	s_barrier
	ds_write_b128 v78, v[162:165]
	ds_write_b128 v79, v[140:143]
	;; [unrolled: 1-line block ×6, first 2 shown]
	s_waitcnt lgkmcnt(0)
	s_barrier
	ds_read2_b64 v[138:141], v108 offset1:117
	ds_read2_b64 v[142:145], v133 offset0:62 offset1:179
	ds_read2_b64 v[146:149], v131 offset0:106 offset1:223
	;; [unrolled: 1-line block ×5, first 2 shown]
	s_waitcnt lgkmcnt(4)
	v_mul_f32_e32 v111, v75, v145
	v_mul_f32_e32 v75, v75, v144
	;; [unrolled: 1-line block ×3, first 2 shown]
	v_fma_f32 v112, v114, v145, -v75
	s_waitcnt lgkmcnt(2)
	v_mul_f32_e32 v75, v73, v150
	v_mul_f32_e32 v78, v73, v143
	v_fma_f32 v79, v72, v143, -v79
	v_fmac_f32_e32 v111, v114, v144
	v_mul_f32_e32 v114, v73, v151
	v_fma_f32 v128, v72, v151, -v75
	v_mul_f32_e32 v129, v77, v153
	v_mul_f32_e32 v75, v77, v152
	s_waitcnt lgkmcnt(0)
	v_mul_f32_e32 v143, v73, v159
	v_mul_f32_e32 v73, v73, v158
	v_fmac_f32_e32 v78, v72, v142
	v_fmac_f32_e32 v114, v72, v150
	;; [unrolled: 1-line block ×3, first 2 shown]
	v_fma_f32 v142, v76, v153, -v75
	v_fmac_f32_e32 v143, v72, v158
	v_fma_f32 v144, v72, v159, -v73
	v_mul_f32_e32 v145, v113, v161
	v_mul_f32_e32 v72, v113, v160
	v_sub_f32_e32 v76, v140, v111
	v_sub_f32_e32 v77, v141, v112
	v_fmac_f32_e32 v145, v74, v160
	v_fma_f32 v150, v74, v161, -v72
	v_sub_f32_e32 v72, v138, v78
	v_sub_f32_e32 v73, v139, v79
	v_fma_f32 v78, v140, 2.0, -v76
	v_fma_f32 v79, v141, 2.0, -v77
	v_sub_f32_e32 v111, v146, v114
	v_sub_f32_e32 v112, v147, v128
	;; [unrolled: 1-line block ×6, first 2 shown]
	v_fma_f32 v74, v138, 2.0, -v72
	v_fma_f32 v75, v139, 2.0, -v73
	;; [unrolled: 1-line block ×8, first 2 shown]
	v_sub_f32_e32 v144, v156, v145
	v_sub_f32_e32 v145, v157, v150
	v_fma_f32 v146, v156, 2.0, -v144
	v_fma_f32 v147, v157, 2.0, -v145
	s_barrier
	ds_write2_b64 v115, v[74:75], v[72:73] offset1:2
	ds_write2_b64 v116, v[78:79], v[76:77] offset1:2
	;; [unrolled: 1-line block ×6, first 2 shown]
	s_waitcnt lgkmcnt(0)
	s_barrier
	ds_read2_b64 v[72:75], v108 offset1:117
	ds_read2_b64 v[111:114], v130 offset0:84 offset1:201
	ds_read2_b64 v[115:118], v134 offset0:40 offset1:157
	;; [unrolled: 1-line block ×5, first 2 shown]
	s_waitcnt lgkmcnt(4)
	v_mul_f32_e32 v119, v1, v112
	v_mul_f32_e32 v1, v1, v111
	v_fmac_f32_e32 v119, v0, v111
	v_fma_f32 v111, v0, v112, -v1
	s_waitcnt lgkmcnt(3)
	v_mul_f32_e32 v112, v3, v116
	v_mul_f32_e32 v0, v3, v115
	v_fmac_f32_e32 v112, v2, v115
	v_fma_f32 v3, v2, v116, -v0
	v_mul_f32_e32 v115, v5, v114
	v_mul_f32_e32 v0, v5, v113
	v_fmac_f32_e32 v115, v4, v113
	v_fma_f32 v4, v4, v114, -v0
	v_mul_f32_e32 v5, v7, v118
	v_mul_f32_e32 v0, v7, v117
	v_fmac_f32_e32 v5, v6, v117
	v_fma_f32 v6, v6, v118, -v0
	s_waitcnt lgkmcnt(1)
	v_mul_f32_e32 v0, v21, v138
	v_mul_f32_e32 v7, v21, v139
	v_fma_f32 v21, v20, v139, -v0
	s_waitcnt lgkmcnt(0)
	v_mul_f32_e32 v113, v23, v143
	v_mul_f32_e32 v0, v23, v142
	v_fmac_f32_e32 v113, v22, v142
	v_fma_f32 v22, v22, v143, -v0
	v_mul_f32_e32 v114, v9, v141
	v_mul_f32_e32 v0, v9, v140
	v_add_f32_e32 v1, v119, v112
	v_fmac_f32_e32 v114, v8, v140
	v_fma_f32 v116, v8, v141, -v0
	v_fma_f32 v8, -0.5, v1, v72
	v_sub_f32_e32 v1, v111, v3
	v_mov_b32_e32 v2, v8
	v_fmac_f32_e32 v2, 0xbf5db3d7, v1
	v_fmac_f32_e32 v8, 0x3f5db3d7, v1
	v_add_f32_e32 v1, v73, v111
	v_add_f32_e32 v1, v1, v3
	;; [unrolled: 1-line block ×3, first 2 shown]
	v_mul_f32_e32 v117, v11, v145
	v_mul_f32_e32 v0, v11, v144
	v_fma_f32 v9, -0.5, v3, v73
	v_fmac_f32_e32 v117, v10, v144
	v_fma_f32 v118, v10, v145, -v0
	v_sub_f32_e32 v10, v119, v112
	v_mov_b32_e32 v3, v9
	v_add_f32_e32 v11, v115, v5
	v_fmac_f32_e32 v3, 0x3f5db3d7, v10
	v_fmac_f32_e32 v9, 0xbf5db3d7, v10
	v_add_f32_e32 v10, v74, v115
	v_fma_f32 v74, -0.5, v11, v74
	v_add_f32_e32 v0, v72, v119
	v_sub_f32_e32 v11, v4, v6
	v_mov_b32_e32 v72, v74
	v_fmac_f32_e32 v7, v20, v138
	v_fmac_f32_e32 v72, 0xbf5db3d7, v11
	;; [unrolled: 1-line block ×3, first 2 shown]
	v_add_f32_e32 v11, v75, v4
	v_add_f32_e32 v4, v4, v6
	v_add_f32_e32 v10, v10, v5
	v_fmac_f32_e32 v75, -0.5, v4
	v_sub_f32_e32 v4, v115, v5
	v_add_f32_e32 v5, v7, v113
	v_fma_f32 v20, -0.5, v5, v76
	v_add_f32_e32 v11, v11, v6
	v_sub_f32_e32 v5, v21, v22
	v_mov_b32_e32 v6, v20
	v_fmac_f32_e32 v6, 0xbf5db3d7, v5
	v_fmac_f32_e32 v20, 0x3f5db3d7, v5
	v_add_f32_e32 v5, v77, v21
	v_add_f32_e32 v21, v21, v22
	v_mov_b32_e32 v73, v75
	v_fma_f32 v21, -0.5, v21, v77
	v_fmac_f32_e32 v73, 0x3f5db3d7, v4
	v_fmac_f32_e32 v75, 0xbf5db3d7, v4
	v_add_f32_e32 v4, v76, v7
	v_add_f32_e32 v5, v5, v22
	v_sub_f32_e32 v22, v7, v113
	v_mov_b32_e32 v7, v21
	v_add_f32_e32 v23, v114, v117
	v_fmac_f32_e32 v7, 0x3f5db3d7, v22
	v_fmac_f32_e32 v21, 0xbf5db3d7, v22
	v_add_f32_e32 v22, v78, v114
	v_fma_f32 v78, -0.5, v23, v78
	v_sub_f32_e32 v23, v116, v118
	v_mov_b32_e32 v76, v78
	v_add_f32_e32 v77, v116, v118
	v_fmac_f32_e32 v76, 0xbf5db3d7, v23
	v_fmac_f32_e32 v78, 0x3f5db3d7, v23
	v_add_f32_e32 v23, v79, v116
	v_fmac_f32_e32 v79, -0.5, v77
	v_sub_f32_e32 v111, v114, v117
	v_mov_b32_e32 v77, v79
	v_add_f32_e32 v0, v0, v112
	v_add_f32_e32 v4, v4, v113
	;; [unrolled: 1-line block ×4, first 2 shown]
	v_fmac_f32_e32 v77, 0x3f5db3d7, v111
	v_fmac_f32_e32 v79, 0xbf5db3d7, v111
	s_barrier
	ds_write2_b64 v124, v[0:1], v[2:3] offset1:4
	ds_write_b64 v124, v[8:9] offset:64
	ds_write2_b64 v123, v[10:11], v[72:73] offset1:4
	ds_write_b64 v123, v[74:75] offset:64
	;; [unrolled: 2-line block ×4, first 2 shown]
	s_waitcnt lgkmcnt(0)
	s_barrier
	s_and_saveexec_b64 s[0:1], vcc
	s_cbranch_execz .LBB0_7
; %bb.6:
	ds_read2_b64 v[0:3], v108 offset1:108
	ds_read2_b64 v[8:11], v131 offset0:88 offset1:196
	ds_read2_b64 v[72:75], v130 offset0:48 offset1:156
	;; [unrolled: 1-line block ×5, first 2 shown]
	ds_read_b64 v[105:106], v108 offset:10368
.LBB0_7:
	s_or_b64 exec, exec, s[0:1]
	s_waitcnt lgkmcnt(0)
	s_barrier
	s_and_saveexec_b64 s[0:1], vcc
	s_cbranch_execz .LBB0_9
; %bb.8:
	v_mul_f32_e32 v112, v29, v3
	v_mul_f32_e32 v113, v39, v106
	v_fmac_f32_e32 v112, v28, v2
	v_fmac_f32_e32 v113, v38, v105
	v_sub_f32_e32 v111, v112, v113
	v_mul_f32_e32 v39, v39, v105
	v_mul_f32_e32 v2, v29, v2
	;; [unrolled: 1-line block ×3, first 2 shown]
	v_fma_f32 v38, v38, v106, -v39
	v_fma_f32 v28, v28, v3, -v2
	v_add_f32_e32 v29, v38, v28
	v_mov_b32_e32 v2, v114
	v_mul_f32_e32 v39, v31, v9
	v_mul_f32_e32 v105, v37, v79
	v_fmac_f32_e32 v2, 0x3df6dbef, v29
	v_fmac_f32_e32 v39, v30, v8
	;; [unrolled: 1-line block ×3, first 2 shown]
	v_add_f32_e32 v3, v1, v2
	v_sub_f32_e32 v2, v39, v105
	v_mul_f32_e32 v37, v37, v78
	v_mul_f32_e32 v8, v31, v8
	;; [unrolled: 1-line block ×3, first 2 shown]
	v_fma_f32 v36, v36, v79, -v37
	v_fma_f32 v30, v30, v9, -v8
	v_add_f32_e32 v31, v36, v30
	v_mov_b32_e32 v8, v106
	v_fmac_f32_e32 v8, 0xbf788fa5, v31
	v_mul_f32_e32 v37, v25, v11
	v_mul_f32_e32 v78, v35, v77
	v_add_f32_e32 v3, v8, v3
	v_fmac_f32_e32 v37, v24, v10
	v_fmac_f32_e32 v78, v34, v76
	v_mul_f32_e32 v8, v35, v76
	v_sub_f32_e32 v79, v37, v78
	v_fma_f32 v34, v34, v77, -v8
	v_mul_f32_e32 v8, v25, v10
	v_mul_f32_e32 v115, 0x3f6f5d39, v79
	v_fma_f32 v24, v24, v11, -v8
	v_add_f32_e32 v25, v34, v24
	v_mov_b32_e32 v8, v115
	v_fmac_f32_e32 v8, 0xbeb58ec6, v25
	v_mul_f32_e32 v35, v27, v73
	v_mul_f32_e32 v76, v33, v23
	v_add_f32_e32 v3, v8, v3
	v_fmac_f32_e32 v35, v26, v72
	v_fmac_f32_e32 v76, v32, v22
	v_mul_f32_e32 v8, v33, v22
	v_sub_f32_e32 v77, v35, v76
	v_fma_f32 v22, v32, v23, -v8
	v_mul_f32_e32 v8, v27, v72
	v_mul_f32_e32 v116, 0x3eedf032, v77
	v_fma_f32 v23, v26, v73, -v8
	v_add_f32_e32 v26, v22, v23
	v_mov_b32_e32 v8, v116
	v_fmac_f32_e32 v8, 0x3f62ad3f, v26
	v_add_f32_e32 v3, v8, v3
	v_mul_f32_e32 v27, v13, v75
	v_mul_f32_e32 v32, v19, v21
	;; [unrolled: 1-line block ×3, first 2 shown]
	v_fmac_f32_e32 v27, v12, v74
	v_fmac_f32_e32 v32, v18, v20
	v_fma_f32 v19, v18, v21, -v8
	v_mul_f32_e32 v21, v15, v5
	v_mul_f32_e32 v73, v17, v7
	v_sub_f32_e32 v33, v27, v32
	v_mul_f32_e32 v8, v13, v74
	v_fmac_f32_e32 v21, v14, v4
	v_fmac_f32_e32 v73, v16, v6
	v_mul_f32_e32 v72, 0xbf52af12, v33
	v_fma_f32 v20, v12, v75, -v8
	v_sub_f32_e32 v74, v21, v73
	v_mul_f32_e32 v6, v17, v6
	v_mul_f32_e32 v4, v15, v4
	v_add_f32_e32 v18, v19, v20
	v_mov_b32_e32 v8, v72
	v_mul_f32_e32 v13, 0xbf29c268, v74
	v_fma_f32 v75, v16, v7, -v6
	v_fma_f32 v117, v14, v5, -v4
	v_fmac_f32_e32 v8, 0x3f116cb1, v18
	v_add_f32_e32 v17, v75, v117
	v_mov_b32_e32 v4, v13
	v_sub_f32_e32 v119, v28, v38
	s_mov_b32 s4, 0x3df6dbef
	v_add_f32_e32 v3, v8, v3
	v_fmac_f32_e32 v4, 0xbf3f9e67, v17
	v_add_f32_e32 v118, v113, v112
	v_mul_f32_e32 v15, 0xbf7e222b, v119
	v_sub_f32_e32 v121, v30, v36
	s_mov_b32 s5, 0xbf788fa5
	v_add_f32_e32 v4, v4, v3
	v_fma_f32 v3, v118, s4, -v15
	v_add_f32_e32 v120, v105, v39
	v_mul_f32_e32 v16, 0xbe750f2a, v121
	v_sub_f32_e32 v123, v24, v34
	s_mov_b32 s6, 0xbeb58ec6
	v_add_f32_e32 v3, v0, v3
	v_fma_f32 v5, v120, s5, -v16
	;; [unrolled: 6-line block ×5, first 2 shown]
	v_add_f32_e32 v134, v73, v21
	v_mul_f32_e32 v136, 0xbf29c268, v135
	v_add_f32_e32 v3, v5, v3
	v_fma_f32 v5, v134, s13, -v136
	v_mul_f32_e32 v9, 0xbf29c268, v111
	v_add_f32_e32 v3, v5, v3
	v_mov_b32_e32 v5, v9
	v_mul_f32_e32 v10, 0x3f7e222b, v2
	v_fmac_f32_e32 v5, 0xbf3f9e67, v29
	v_mov_b32_e32 v6, v10
	v_add_f32_e32 v5, v1, v5
	v_fmac_f32_e32 v6, 0x3df6dbef, v31
	v_mul_f32_e32 v11, 0xbf52af12, v79
	v_add_f32_e32 v5, v6, v5
	v_mov_b32_e32 v6, v11
	v_fmac_f32_e32 v6, 0x3f116cb1, v25
	v_mul_f32_e32 v12, 0x3e750f2a, v77
	v_add_f32_e32 v5, v6, v5
	v_mov_b32_e32 v6, v12
	;; [unrolled: 4-line block ×4, first 2 shown]
	v_fmac_f32_e32 v6, 0xbeb58ec6, v17
	v_mul_f32_e32 v138, 0xbf29c268, v119
	v_add_f32_e32 v6, v6, v5
	v_fma_f32 v5, v118, s13, -v138
	v_mul_f32_e32 v139, 0x3f7e222b, v121
	v_add_f32_e32 v5, v0, v5
	v_fma_f32 v7, v120, s4, -v139
	;; [unrolled: 3-line block ×6, first 2 shown]
	v_mul_f32_e32 v144, 0xbf788fa5, v29
	v_add_f32_e32 v5, v7, v5
	v_mov_b32_e32 v7, v144
	v_mul_f32_e32 v145, 0x3f62ad3f, v31
	v_fmac_f32_e32 v7, 0x3e750f2a, v111
	v_mov_b32_e32 v8, v145
	v_add_f32_e32 v7, v1, v7
	v_fmac_f32_e32 v8, 0xbeedf032, v2
	v_mul_f32_e32 v146, 0xbf3f9e67, v25
	v_add_f32_e32 v7, v8, v7
	v_mov_b32_e32 v8, v146
	v_fmac_f32_e32 v8, 0x3f29c268, v79
	v_mul_f32_e32 v147, 0x3f116cb1, v26
	v_add_f32_e32 v7, v8, v7
	v_mov_b32_e32 v8, v147
	;; [unrolled: 4-line block ×4, first 2 shown]
	v_fma_f32 v9, v29, s13, -v9
	v_fmac_f32_e32 v8, 0xbf7e222b, v74
	v_mul_f32_e32 v150, 0xbe750f2a, v119
	v_add_f32_e32 v9, v1, v9
	v_fma_f32 v10, v31, s4, -v10
	v_add_f32_e32 v8, v8, v7
	v_mov_b32_e32 v7, v150
	v_mul_f32_e32 v151, 0x3eedf032, v121
	v_add_f32_e32 v9, v10, v9
	v_fma_f32 v10, v25, s12, -v11
	v_fmac_f32_e32 v7, 0xbf788fa5, v118
	v_mov_b32_e32 v152, v151
	v_add_f32_e32 v9, v10, v9
	v_fma_f32 v10, v26, s5, -v12
	v_add_f32_e32 v7, v0, v7
	v_fmac_f32_e32 v152, 0x3f62ad3f, v120
	v_add_f32_e32 v9, v10, v9
	v_fma_f32 v10, v18, s7, -v14
	v_add_f32_e32 v7, v152, v7
	v_mul_f32_e32 v152, 0xbf29c268, v123
	v_add_f32_e32 v9, v10, v9
	v_fma_f32 v10, v17, s6, -v137
	v_fmac_f32_e32 v138, 0xbf3f9e67, v118
	v_mul_f32_e32 v137, 0xbeb58ec6, v29
	v_mov_b32_e32 v153, v152
	v_add_f32_e32 v10, v10, v9
	v_add_f32_e32 v9, v0, v138
	v_mov_b32_e32 v11, v137
	v_mul_f32_e32 v138, 0xbf3f9e67, v31
	v_fmac_f32_e32 v153, 0xbf3f9e67, v122
	v_fmac_f32_e32 v139, 0x3df6dbef, v120
	;; [unrolled: 1-line block ×3, first 2 shown]
	v_mov_b32_e32 v12, v138
	v_add_f32_e32 v7, v153, v7
	v_mul_f32_e32 v153, 0x3f52af12, v129
	v_add_f32_e32 v9, v139, v9
	v_add_f32_e32 v11, v1, v11
	v_fmac_f32_e32 v12, 0xbf29c268, v2
	v_mul_f32_e32 v139, 0x3f62ad3f, v25
	v_mov_b32_e32 v154, v153
	v_fmac_f32_e32 v140, 0x3f116cb1, v122
	v_add_f32_e32 v11, v12, v11
	v_mov_b32_e32 v12, v139
	v_fmac_f32_e32 v154, 0x3f116cb1, v128
	v_add_f32_e32 v9, v140, v9
	v_fmac_f32_e32 v12, 0xbeedf032, v79
	v_mul_f32_e32 v140, 0x3df6dbef, v26
	v_add_f32_e32 v7, v154, v7
	v_mul_f32_e32 v154, 0xbf6f5d39, v132
	v_fmac_f32_e32 v141, 0xbf788fa5, v128
	v_add_f32_e32 v11, v12, v11
	v_mov_b32_e32 v12, v140
	v_mov_b32_e32 v155, v154
	v_add_f32_e32 v9, v141, v9
	v_fmac_f32_e32 v12, 0x3f7e222b, v77
	v_mul_f32_e32 v141, 0xbf788fa5, v18
	v_fmac_f32_e32 v155, 0xbeb58ec6, v131
	v_fmac_f32_e32 v142, 0x3f62ad3f, v131
	v_add_f32_e32 v11, v12, v11
	v_mov_b32_e32 v12, v141
	v_add_f32_e32 v7, v155, v7
	v_mul_f32_e32 v155, 0x3f7e222b, v135
	v_add_f32_e32 v9, v142, v9
	v_fmac_f32_e32 v12, 0xbe750f2a, v33
	v_mul_f32_e32 v142, 0x3f116cb1, v17
	v_mov_b32_e32 v156, v155
	v_fmac_f32_e32 v143, 0xbeb58ec6, v134
	v_add_f32_e32 v11, v12, v11
	v_mov_b32_e32 v12, v142
	v_fmac_f32_e32 v156, 0x3df6dbef, v134
	v_add_f32_e32 v9, v143, v9
	v_fmac_f32_e32 v12, 0xbf52af12, v74
	v_mul_f32_e32 v143, 0xbf6f5d39, v119
	v_add_f32_e32 v7, v156, v7
	v_add_f32_e32 v12, v12, v11
	v_mov_b32_e32 v11, v143
	v_mul_f32_e32 v156, 0x3f29c268, v121
	v_fmac_f32_e32 v11, 0xbeb58ec6, v118
	v_mov_b32_e32 v14, v156
	v_add_f32_e32 v11, v0, v11
	v_fmac_f32_e32 v14, 0xbf3f9e67, v120
	v_mul_f32_e32 v157, 0x3eedf032, v123
	v_add_f32_e32 v11, v14, v11
	v_mov_b32_e32 v14, v157
	v_fmac_f32_e32 v14, 0x3f62ad3f, v122
	v_mul_f32_e32 v158, 0xbf7e222b, v129
	v_add_f32_e32 v11, v14, v11
	v_mov_b32_e32 v14, v158
	v_fmac_f32_e32 v14, 0x3df6dbef, v128
	v_mul_f32_e32 v159, 0x3e750f2a, v132
	v_add_f32_e32 v11, v14, v11
	v_mov_b32_e32 v14, v159
	v_fmac_f32_e32 v14, 0xbf788fa5, v131
	v_mul_f32_e32 v160, 0x3f52af12, v135
	v_add_f32_e32 v11, v14, v11
	v_mov_b32_e32 v14, v160
	v_fmac_f32_e32 v14, 0x3f116cb1, v134
	v_add_f32_e32 v11, v14, v11
	v_fma_f32 v14, v29, s4, -v114
	v_add_f32_e32 v14, v1, v14
	v_fma_f32 v106, v31, s5, -v106
	;; [unrolled: 2-line block ×6, first 2 shown]
	v_fmac_f32_e32 v15, 0x3df6dbef, v118
	v_mul_f32_e32 v72, 0x3f116cb1, v29
	v_add_f32_e32 v14, v13, v14
	v_add_f32_e32 v13, v0, v15
	v_fmac_f32_e32 v16, 0xbf788fa5, v120
	v_mov_b32_e32 v15, v72
	v_mul_f32_e32 v106, 0xbeb58ec6, v31
	v_add_f32_e32 v13, v16, v13
	v_fmac_f32_e32 v15, 0x3f52af12, v111
	v_mov_b32_e32 v16, v106
	v_add_f32_e32 v15, v1, v15
	v_fmac_f32_e32 v16, 0x3f6f5d39, v2
	v_mul_f32_e32 v114, 0xbf788fa5, v25
	v_add_f32_e32 v15, v16, v15
	v_mov_b32_e32 v16, v114
	v_fmac_f32_e32 v16, 0x3e750f2a, v79
	v_mul_f32_e32 v115, 0xbf3f9e67, v26
	v_add_f32_e32 v15, v16, v15
	v_mov_b32_e32 v16, v115
	v_fmac_f32_e32 v16, 0xbf29c268, v77
	v_mul_f32_e32 v116, 0x3df6dbef, v18
	v_fmac_f32_e32 v124, 0xbeb58ec6, v122
	v_add_f32_e32 v15, v16, v15
	v_mov_b32_e32 v16, v116
	v_add_f32_e32 v13, v124, v13
	v_fmac_f32_e32 v16, 0xbf7e222b, v33
	v_mul_f32_e32 v124, 0x3f62ad3f, v17
	v_fmac_f32_e32 v130, 0x3f62ad3f, v128
	v_add_f32_e32 v15, v16, v15
	v_mov_b32_e32 v16, v124
	v_add_f32_e32 v13, v130, v13
	v_fmac_f32_e32 v133, 0x3f116cb1, v131
	v_fmac_f32_e32 v16, 0xbeedf032, v74
	v_mul_f32_e32 v130, 0xbf52af12, v119
	v_add_f32_e32 v13, v133, v13
	v_fmac_f32_e32 v136, 0xbf3f9e67, v134
	v_add_f32_e32 v16, v16, v15
	v_mov_b32_e32 v15, v130
	v_mul_f32_e32 v133, 0xbf6f5d39, v121
	v_add_f32_e32 v13, v136, v13
	v_fmac_f32_e32 v15, 0x3f116cb1, v118
	v_mov_b32_e32 v136, v133
	v_add_f32_e32 v15, v0, v15
	v_fmac_f32_e32 v136, 0xbeb58ec6, v120
	v_add_f32_e32 v15, v136, v15
	v_mul_f32_e32 v136, 0xbe750f2a, v123
	v_mov_b32_e32 v161, v136
	v_fmac_f32_e32 v161, 0xbf788fa5, v122
	v_add_f32_e32 v15, v161, v15
	v_mul_f32_e32 v161, 0x3f29c268, v129
	v_mov_b32_e32 v162, v161
	;; [unrolled: 4-line block ×4, first 2 shown]
	v_fmac_f32_e32 v164, 0x3f62ad3f, v134
	v_mul_f32_e32 v29, 0x3f62ad3f, v29
	v_add_f32_e32 v15, v164, v15
	v_mov_b32_e32 v164, v29
	v_mul_f32_e32 v31, 0x3f116cb1, v31
	v_fmac_f32_e32 v164, 0x3eedf032, v111
	v_mov_b32_e32 v165, v31
	v_add_f32_e32 v164, v1, v164
	v_fmac_f32_e32 v165, 0x3f52af12, v2
	v_add_f32_e32 v164, v165, v164
	v_mul_f32_e32 v165, 0x3df6dbef, v25
	v_mov_b32_e32 v25, v165
	v_fmac_f32_e32 v25, 0x3f7e222b, v79
	v_add_f32_e32 v25, v25, v164
	v_mul_f32_e32 v164, 0xbeb58ec6, v26
	v_mov_b32_e32 v26, v164
	v_mul_f32_e32 v166, 0xbf3f9e67, v18
	v_fmac_f32_e32 v26, 0x3f6f5d39, v77
	v_mov_b32_e32 v18, v166
	v_mul_f32_e32 v167, 0xbf788fa5, v17
	v_add_f32_e32 v25, v26, v25
	v_fmac_f32_e32 v18, 0x3f29c268, v33
	v_mov_b32_e32 v17, v167
	v_add_f32_e32 v18, v18, v25
	v_fmac_f32_e32 v17, 0x3e750f2a, v74
	v_mul_f32_e32 v119, 0xbeedf032, v119
	v_add_f32_e32 v18, v17, v18
	v_mov_b32_e32 v17, v119
	v_mul_f32_e32 v121, 0xbf52af12, v121
	v_fmac_f32_e32 v17, 0x3f62ad3f, v118
	v_mov_b32_e32 v25, v121
	v_add_f32_e32 v17, v0, v17
	v_fmac_f32_e32 v25, 0x3f116cb1, v120
	v_mul_f32_e32 v123, 0xbf7e222b, v123
	v_add_f32_e32 v17, v25, v17
	v_mov_b32_e32 v25, v123
	v_fmac_f32_e32 v25, 0x3df6dbef, v122
	v_mul_f32_e32 v129, 0xbf6f5d39, v129
	v_add_f32_e32 v17, v25, v17
	v_mov_b32_e32 v25, v129
	;; [unrolled: 4-line block ×4, first 2 shown]
	v_fmac_f32_e32 v25, 0xbf788fa5, v134
	v_add_f32_e32 v17, v25, v17
	v_add_f32_e32 v25, v28, v1
	;; [unrolled: 1-line block ×18, first 2 shown]
	v_fmac_f32_e32 v144, 0xbe750f2a, v111
	v_add_f32_e32 v19, v21, v19
	v_add_f32_e32 v21, v1, v144
	v_fmac_f32_e32 v145, 0x3eedf032, v2
	v_add_f32_e32 v21, v145, v21
	v_fmac_f32_e32 v146, 0xbf29c268, v79
	v_add_f32_e32 v21, v146, v21
	v_fmac_f32_e32 v147, 0x3f52af12, v77
	v_add_f32_e32 v21, v147, v21
	v_fmac_f32_e32 v148, 0xbf6f5d39, v33
	v_add_f32_e32 v21, v148, v21
	v_fmac_f32_e32 v149, 0x3f7e222b, v74
	v_add_f32_e32 v22, v149, v21
	v_fma_f32 v21, v118, s5, -v150
	v_add_f32_e32 v21, v0, v21
	v_fma_f32 v23, v120, s7, -v151
	;; [unrolled: 2-line block ×6, first 2 shown]
	v_fmac_f32_e32 v137, 0xbf6f5d39, v111
	v_add_f32_e32 v21, v23, v21
	v_add_f32_e32 v23, v1, v137
	v_fmac_f32_e32 v138, 0x3f29c268, v2
	v_add_f32_e32 v23, v138, v23
	v_fmac_f32_e32 v139, 0x3eedf032, v79
	;; [unrolled: 2-line block ×5, first 2 shown]
	v_add_f32_e32 v24, v142, v23
	v_fma_f32 v23, v118, s6, -v143
	v_add_f32_e32 v23, v0, v23
	v_fma_f32 v25, v120, s13, -v156
	v_add_f32_e32 v23, v25, v23
	v_fma_f32 v25, v122, s7, -v157
	v_add_f32_e32 v23, v25, v23
	v_fma_f32 v25, v128, s4, -v158
	v_add_f32_e32 v23, v25, v23
	v_fma_f32 v25, v131, s5, -v159
	v_add_f32_e32 v23, v25, v23
	v_fma_f32 v25, v134, s12, -v160
	v_fmac_f32_e32 v72, 0xbf52af12, v111
	v_add_f32_e32 v23, v25, v23
	v_add_f32_e32 v25, v1, v72
	v_fmac_f32_e32 v106, 0xbf6f5d39, v2
	v_add_f32_e32 v25, v106, v25
	v_fmac_f32_e32 v114, 0xbe750f2a, v79
	;; [unrolled: 2-line block ×5, first 2 shown]
	v_add_f32_e32 v26, v124, v25
	v_fma_f32 v25, v118, s12, -v130
	v_fmac_f32_e32 v31, 0xbf52af12, v2
	v_fma_f32 v2, v118, s7, -v119
	v_add_f32_e32 v25, v0, v25
	v_add_f32_e32 v0, v0, v2
	v_fma_f32 v2, v120, s12, -v121
	v_add_f32_e32 v19, v73, v19
	v_fmac_f32_e32 v29, 0xbeedf032, v111
	v_add_f32_e32 v0, v2, v0
	v_fma_f32 v2, v122, s4, -v123
	v_add_f32_e32 v19, v32, v19
	v_fma_f32 v27, v120, s6, -v133
	v_add_f32_e32 v1, v1, v29
	v_add_f32_e32 v0, v2, v0
	v_fma_f32 v2, v128, s6, -v129
	v_add_f32_e32 v19, v76, v19
	;; [unrolled: 3-line block ×3, first 2 shown]
	v_fmac_f32_e32 v165, 0xbf7e222b, v79
	v_add_f32_e32 v0, v2, v0
	v_fma_f32 v2, v131, s13, -v132
	v_add_f32_e32 v19, v78, v19
	v_add_f32_e32 v25, v27, v25
	v_fma_f32 v27, v128, s13, -v161
	v_add_f32_e32 v1, v165, v1
	v_fmac_f32_e32 v164, 0xbf6f5d39, v77
	v_add_f32_e32 v0, v2, v0
	v_fma_f32 v2, v134, s5, -v135
	v_add_f32_e32 v19, v105, v19
	v_add_f32_e32 v25, v27, v25
	v_fma_f32 v27, v131, s4, -v162
	v_add_f32_e32 v1, v164, v1
	v_fmac_f32_e32 v166, 0xbf29c268, v33
	v_add_f32_e32 v0, v2, v0
	v_mul_u32_u24_e32 v2, 0x9c, v109
	v_add_f32_e32 v19, v113, v19
	v_add_f32_e32 v25, v27, v25
	v_fma_f32 v27, v134, s7, -v163
	v_add_f32_e32 v1, v166, v1
	v_fmac_f32_e32 v167, 0xbe750f2a, v74
	v_add_lshl_u32 v2, v2, v110, 3
	v_add_f32_e32 v25, v27, v25
	v_add_f32_e32 v1, v167, v1
	ds_write2_b64 v2, v[19:20], v[17:18] offset1:12
	ds_write2_b64 v2, v[15:16], v[13:14] offset0:24 offset1:36
	ds_write2_b64 v2, v[11:12], v[9:10] offset0:48 offset1:60
	ds_write2_b64 v2, v[7:8], v[21:22] offset0:72 offset1:84
	ds_write2_b64 v2, v[5:6], v[23:24] offset0:96 offset1:108
	ds_write2_b64 v2, v[3:4], v[25:26] offset0:120 offset1:132
	ds_write_b64 v2, v[0:1] offset:1152
.LBB0_9:
	s_or_b64 exec, exec, s[0:1]
	v_add_u32_e32 v1, 0xc00, v108
	s_waitcnt lgkmcnt(0)
	s_barrier
	ds_read2_b64 v[6:9], v1 offset0:84 offset1:201
	v_add_u32_e32 v28, 0x1c00, v108
	ds_read2_b64 v[10:13], v28 offset0:40 offset1:157
	v_add_u32_e32 v30, 0x1400, v108
	;; [unrolled: 2-line block ×3, first 2 shown]
	s_waitcnt lgkmcnt(2)
	v_mul_f32_e32 v31, v41, v7
	ds_read2_b64 v[22:25], v0 offset0:18 offset1:135
	v_fmac_f32_e32 v31, v40, v6
	v_mul_f32_e32 v6, v41, v6
	v_fma_f32 v32, v40, v7, -v6
	s_waitcnt lgkmcnt(2)
	v_mul_f32_e32 v33, v43, v11
	v_mul_f32_e32 v6, v43, v10
	v_fmac_f32_e32 v33, v42, v10
	v_fma_f32 v10, v42, v11, -v6
	v_mul_f32_e32 v6, v45, v8
	ds_read2_b64 v[2:5], v108 offset1:117
	v_fma_f32 v35, v44, v9, -v6
	v_mul_f32_e32 v6, v47, v12
	v_mul_f32_e32 v36, v47, v13
	v_fma_f32 v13, v46, v13, -v6
	s_waitcnt lgkmcnt(2)
	v_mul_f32_e32 v6, v49, v18
	v_fma_f32 v38, v48, v19, -v6
	s_waitcnt lgkmcnt(1)
	v_mul_f32_e32 v39, v51, v23
	v_mul_f32_e32 v6, v51, v22
	v_fmac_f32_e32 v39, v50, v22
	v_fma_f32 v22, v50, v23, -v6
	v_mul_f32_e32 v6, v53, v20
	v_fma_f32 v41, v52, v21, -v6
	v_mul_f32_e32 v6, v55, v24
	v_add_f32_e32 v7, v31, v33
	v_mul_f32_e32 v34, v45, v9
	v_mul_f32_e32 v42, v55, v25
	v_fma_f32 v25, v54, v25, -v6
	s_waitcnt lgkmcnt(0)
	v_add_f32_e32 v6, v2, v31
	v_fma_f32 v2, -0.5, v7, v2
	v_fmac_f32_e32 v34, v44, v8
	v_sub_f32_e32 v7, v32, v10
	v_mov_b32_e32 v8, v2
	v_add_f32_e32 v9, v32, v10
	v_fmac_f32_e32 v36, v46, v12
	v_fmac_f32_e32 v8, 0xbf5db3d7, v7
	;; [unrolled: 1-line block ×3, first 2 shown]
	v_add_f32_e32 v7, v3, v32
	v_fma_f32 v3, -0.5, v9, v3
	v_add_f32_e32 v7, v7, v10
	v_sub_f32_e32 v10, v31, v33
	v_mov_b32_e32 v9, v3
	v_add_f32_e32 v11, v34, v36
	v_add_u32_e32 v29, 0x400, v108
	v_fmac_f32_e32 v9, 0x3f5db3d7, v10
	v_fmac_f32_e32 v3, 0xbf5db3d7, v10
	v_add_f32_e32 v10, v4, v34
	v_fma_f32 v4, -0.5, v11, v4
	ds_read2_b64 v[14:17], v29 offset0:106 offset1:223
	v_sub_f32_e32 v11, v35, v13
	v_mov_b32_e32 v12, v4
	v_fmac_f32_e32 v12, 0xbf5db3d7, v11
	v_fmac_f32_e32 v4, 0x3f5db3d7, v11
	v_add_f32_e32 v11, v5, v35
	v_mul_f32_e32 v37, v49, v19
	v_add_f32_e32 v11, v11, v13
	v_add_f32_e32 v13, v35, v13
	v_fmac_f32_e32 v37, v48, v18
	v_fmac_f32_e32 v5, -0.5, v13
	v_sub_f32_e32 v18, v34, v36
	v_mov_b32_e32 v13, v5
	v_add_f32_e32 v19, v37, v39
	v_mul_f32_e32 v40, v53, v21
	v_fmac_f32_e32 v13, 0x3f5db3d7, v18
	v_fmac_f32_e32 v5, 0xbf5db3d7, v18
	s_waitcnt lgkmcnt(0)
	v_add_f32_e32 v18, v14, v37
	v_fma_f32 v14, -0.5, v19, v14
	v_fmac_f32_e32 v40, v52, v20
	v_sub_f32_e32 v19, v38, v22
	v_mov_b32_e32 v20, v14
	v_add_f32_e32 v21, v38, v22
	v_fmac_f32_e32 v42, v54, v24
	v_fmac_f32_e32 v20, 0xbf5db3d7, v19
	;; [unrolled: 1-line block ×3, first 2 shown]
	v_add_f32_e32 v19, v15, v38
	v_fma_f32 v15, -0.5, v21, v15
	v_add_f32_e32 v19, v19, v22
	v_sub_f32_e32 v22, v37, v39
	v_mov_b32_e32 v21, v15
	v_add_f32_e32 v23, v40, v42
	v_fmac_f32_e32 v21, 0x3f5db3d7, v22
	v_fmac_f32_e32 v15, 0xbf5db3d7, v22
	v_add_f32_e32 v22, v16, v40
	v_fma_f32 v16, -0.5, v23, v16
	v_sub_f32_e32 v23, v41, v25
	v_mov_b32_e32 v24, v16
	v_fmac_f32_e32 v24, 0xbf5db3d7, v23
	v_fmac_f32_e32 v16, 0x3f5db3d7, v23
	v_add_f32_e32 v23, v17, v41
	v_add_f32_e32 v23, v23, v25
	;; [unrolled: 1-line block ×3, first 2 shown]
	v_fmac_f32_e32 v17, -0.5, v25
	v_add_f32_e32 v6, v6, v33
	v_sub_f32_e32 v31, v40, v42
	v_mov_b32_e32 v25, v17
	v_add_f32_e32 v10, v10, v36
	v_add_f32_e32 v18, v18, v39
	v_add_f32_e32 v22, v22, v42
	v_fmac_f32_e32 v25, 0x3f5db3d7, v31
	v_fmac_f32_e32 v17, 0xbf5db3d7, v31
	s_barrier
	ds_write2_b64 v108, v[6:7], v[8:9] offset1:156
	ds_write_b64 v108, v[2:3] offset:2496
	ds_write2_b64 v125, v[10:11], v[12:13] offset1:156
	ds_write_b64 v125, v[4:5] offset:2496
	;; [unrolled: 2-line block ×3, first 2 shown]
	v_add_u32_e32 v2, 0x1c00, v127
	ds_write2_b64 v2, v[22:23], v[24:25] offset0:40 offset1:196
	ds_write_b64 v127, v[16:17] offset:9984
	s_waitcnt lgkmcnt(0)
	s_barrier
	ds_read2_b64 v[2:5], v108 offset1:117
	ds_read2_b64 v[6:9], v1 offset0:84 offset1:201
	ds_read2_b64 v[10:13], v28 offset0:40 offset1:157
	;; [unrolled: 1-line block ×5, first 2 shown]
	s_waitcnt lgkmcnt(4)
	v_mul_f32_e32 v31, v57, v7
	v_fmac_f32_e32 v31, v56, v6
	v_mul_f32_e32 v6, v57, v6
	v_fma_f32 v32, v56, v7, -v6
	s_waitcnt lgkmcnt(3)
	v_mul_f32_e32 v33, v59, v11
	v_mul_f32_e32 v6, v59, v10
	v_fmac_f32_e32 v33, v58, v10
	v_fma_f32 v10, v58, v11, -v6
	v_mul_f32_e32 v6, v61, v8
	v_fma_f32 v35, v60, v9, -v6
	v_mul_f32_e32 v6, v63, v12
	v_mul_f32_e32 v36, v63, v13
	v_fma_f32 v13, v62, v13, -v6
	s_waitcnt lgkmcnt(1)
	v_mul_f32_e32 v6, v65, v18
	v_fma_f32 v38, v64, v19, -v6
	s_waitcnt lgkmcnt(0)
	v_mul_f32_e32 v39, v67, v23
	v_mul_f32_e32 v6, v67, v22
	v_fmac_f32_e32 v39, v66, v22
	v_fma_f32 v22, v66, v23, -v6
	v_mul_f32_e32 v6, v69, v20
	v_fma_f32 v41, v68, v21, -v6
	v_mul_f32_e32 v6, v71, v24
	v_add_f32_e32 v7, v31, v33
	v_mul_f32_e32 v34, v61, v9
	v_mul_f32_e32 v42, v71, v25
	v_fma_f32 v25, v70, v25, -v6
	v_add_f32_e32 v6, v2, v31
	v_fma_f32 v2, -0.5, v7, v2
	v_fmac_f32_e32 v34, v60, v8
	v_sub_f32_e32 v7, v32, v10
	v_mov_b32_e32 v8, v2
	v_add_f32_e32 v9, v32, v10
	v_fmac_f32_e32 v36, v62, v12
	v_fmac_f32_e32 v8, 0xbf5db3d7, v7
	;; [unrolled: 1-line block ×3, first 2 shown]
	v_add_f32_e32 v7, v3, v32
	v_fma_f32 v3, -0.5, v9, v3
	v_add_f32_e32 v7, v7, v10
	v_sub_f32_e32 v10, v31, v33
	v_mov_b32_e32 v9, v3
	v_add_f32_e32 v11, v34, v36
	v_fmac_f32_e32 v9, 0x3f5db3d7, v10
	v_fmac_f32_e32 v3, 0xbf5db3d7, v10
	v_add_f32_e32 v10, v4, v34
	v_fma_f32 v4, -0.5, v11, v4
	v_sub_f32_e32 v11, v35, v13
	v_mov_b32_e32 v12, v4
	v_fmac_f32_e32 v12, 0xbf5db3d7, v11
	v_fmac_f32_e32 v4, 0x3f5db3d7, v11
	v_add_f32_e32 v11, v5, v35
	v_mul_f32_e32 v37, v65, v19
	v_add_f32_e32 v11, v11, v13
	v_add_f32_e32 v13, v35, v13
	v_fmac_f32_e32 v37, v64, v18
	v_fmac_f32_e32 v5, -0.5, v13
	v_sub_f32_e32 v18, v34, v36
	v_mov_b32_e32 v13, v5
	v_add_f32_e32 v19, v37, v39
	v_mul_f32_e32 v40, v69, v21
	v_fmac_f32_e32 v13, 0x3f5db3d7, v18
	v_fmac_f32_e32 v5, 0xbf5db3d7, v18
	v_add_f32_e32 v18, v14, v37
	v_fma_f32 v14, -0.5, v19, v14
	v_fmac_f32_e32 v40, v68, v20
	v_sub_f32_e32 v19, v38, v22
	v_mov_b32_e32 v20, v14
	v_add_f32_e32 v21, v38, v22
	v_fmac_f32_e32 v42, v70, v24
	v_fmac_f32_e32 v20, 0xbf5db3d7, v19
	;; [unrolled: 1-line block ×3, first 2 shown]
	v_add_f32_e32 v19, v15, v38
	v_fma_f32 v15, -0.5, v21, v15
	v_add_f32_e32 v19, v19, v22
	v_sub_f32_e32 v22, v37, v39
	v_mov_b32_e32 v21, v15
	v_add_f32_e32 v23, v40, v42
	v_fmac_f32_e32 v21, 0x3f5db3d7, v22
	v_fmac_f32_e32 v15, 0xbf5db3d7, v22
	v_add_f32_e32 v22, v16, v40
	v_fma_f32 v16, -0.5, v23, v16
	v_sub_f32_e32 v23, v41, v25
	v_mov_b32_e32 v24, v16
	v_fmac_f32_e32 v24, 0xbf5db3d7, v23
	v_fmac_f32_e32 v16, 0x3f5db3d7, v23
	v_add_f32_e32 v23, v17, v41
	v_add_f32_e32 v23, v23, v25
	;; [unrolled: 1-line block ×3, first 2 shown]
	v_fmac_f32_e32 v17, -0.5, v25
	v_mad_u64_u32 v[26:27], s[0:1], s10, v94, 0
	v_add_f32_e32 v6, v6, v33
	v_add_f32_e32 v10, v10, v36
	v_sub_f32_e32 v31, v40, v42
	v_mov_b32_e32 v25, v17
	ds_write_b64 v108, v[8:9] offset:3744
	ds_write_b64 v108, v[2:3] offset:7488
	ds_write2_b64 v108, v[6:7], v[10:11] offset1:117
	ds_write_b64 v108, v[4:5] offset:8424
	v_add_u32_e32 v2, 0x1000, v108
	v_add_f32_e32 v18, v18, v39
	v_add_f32_e32 v22, v22, v42
	v_fmac_f32_e32 v25, 0x3f5db3d7, v31
	v_fmac_f32_e32 v17, 0xbf5db3d7, v31
	ds_write2_b64 v2, v[12:13], v[20:21] offset0:73 offset1:190
	ds_write2_b64 v29, v[18:19], v[22:23] offset0:106 offset1:223
	ds_write_b64 v108, v[24:25] offset:6552
	ds_write2_b64 v0, v[14:15], v[16:17] offset0:18 offset1:135
	s_waitcnt lgkmcnt(0)
	s_barrier
	ds_read2_b64 v[2:5], v108 offset1:117
	v_mov_b32_e32 v6, v27
	v_mad_u64_u32 v[6:7], s[0:1], s11, v94, v[6:7]
	s_mov_b32 s0, 0xc201756d
	s_waitcnt lgkmcnt(0)
	v_mul_f32_e32 v7, v104, v3
	v_fmac_f32_e32 v7, v103, v2
	v_cvt_f64_f32_e32 v[7:8], v7
	s_mov_b32 s1, 0x3f4756ca
	v_mad_u64_u32 v[10:11], s[4:5], s8, v107, 0
	v_mul_f64 v[7:8], v[7:8], s[0:1]
	v_mul_f32_e32 v2, v104, v2
	v_fma_f32 v2, v103, v3, -v2
	v_cvt_f64_f32_e32 v[2:3], v2
	v_mov_b32_e32 v27, v6
	v_mov_b32_e32 v6, v11
	;; [unrolled: 1-line block ×3, first 2 shown]
	v_mul_f64 v[2:3], v[2:3], s[0:1]
	v_mad_u64_u32 v[11:12], s[4:5], s9, v107, v[6:7]
	v_cvt_f32_f64_e32 v12, v[7:8]
	ds_read2_b64 v[6:9], v30 offset0:62 offset1:179
	v_lshlrev_b64 v[10:11], 3, v[10:11]
	s_mul_hi_u32 s3, s8, 0x15f0
	s_mul_hi_u32 s5, s8, 0xffffedb8
	v_cvt_f32_f64_e32 v13, v[2:3]
	s_waitcnt lgkmcnt(0)
	v_mul_f32_e32 v14, v98, v7
	v_fmac_f32_e32 v14, v97, v6
	v_mul_f32_e32 v6, v98, v6
	v_fma_f32 v6, v97, v7, -v6
	v_cvt_f64_f32_e32 v[14:15], v14
	v_cvt_f64_f32_e32 v[6:7], v6
	v_lshlrev_b64 v[2:3], 3, v[26:27]
	s_mul_i32 s4, s9, 0xffffedb8
	v_add_co_u32_e32 v17, vcc, s2, v2
	v_addc_co_u32_e32 v16, vcc, v16, v3, vcc
	v_mul_f64 v[2:3], v[14:15], s[0:1]
	v_mul_f64 v[6:7], v[6:7], s[0:1]
	v_add_co_u32_e32 v10, vcc, v17, v10
	s_mul_i32 s2, s9, 0x15f0
	v_addc_co_u32_e32 v11, vcc, v16, v11, vcc
	s_add_i32 s2, s3, s2
	v_cvt_f32_f64_e32 v2, v[2:3]
	v_cvt_f32_f64_e32 v3, v[6:7]
	v_mul_f32_e32 v6, v96, v5
	v_fmac_f32_e32 v6, v95, v4
	v_mul_f32_e32 v4, v96, v4
	v_fma_f32 v4, v95, v5, -v4
	v_cvt_f64_f32_e32 v[6:7], v6
	v_cvt_f64_f32_e32 v[4:5], v4
	s_mul_i32 s3, s8, 0x15f0
	global_store_dwordx2 v[10:11], v[12:13], off
	v_mul_f64 v[6:7], v[6:7], s[0:1]
	v_mul_f64 v[4:5], v[4:5], s[0:1]
	v_mov_b32_e32 v12, s2
	v_add_co_u32_e32 v10, vcc, s3, v10
	v_addc_co_u32_e32 v11, vcc, v11, v12, vcc
	global_store_dwordx2 v[10:11], v[2:3], off
	v_cvt_f32_f64_e32 v6, v[6:7]
	v_cvt_f32_f64_e32 v7, v[4:5]
	v_mul_f32_e32 v2, v102, v9
	v_mul_f32_e32 v4, v102, v8
	v_fmac_f32_e32 v2, v101, v8
	v_fma_f32 v4, v101, v9, -v4
	v_cvt_f64_f32_e32 v[2:3], v2
	v_cvt_f64_f32_e32 v[4:5], v4
	s_sub_i32 s5, s5, s8
	s_add_i32 s4, s5, s4
	v_mul_f64 v[8:9], v[2:3], s[0:1]
	v_mul_f64 v[12:13], v[4:5], s[0:1]
	ds_read2_b64 v[2:5], v29 offset0:106 offset1:223
	s_mul_i32 s5, s8, 0xffffedb8
	v_mov_b32_e32 v14, s4
	v_add_co_u32_e32 v10, vcc, s5, v10
	v_addc_co_u32_e32 v11, vcc, v11, v14, vcc
	global_store_dwordx2 v[10:11], v[6:7], off
	s_waitcnt lgkmcnt(0)
	v_mul_f32_e32 v6, v100, v3
	v_fmac_f32_e32 v6, v99, v2
	v_cvt_f64_f32_e32 v[6:7], v6
	v_mul_f32_e32 v2, v100, v2
	v_cvt_f32_f64_e32 v15, v[12:13]
	v_fma_f32 v2, v99, v3, -v2
	v_mul_f64 v[12:13], v[6:7], s[0:1]
	v_cvt_f64_f32_e32 v[2:3], v2
	v_cvt_f32_f64_e32 v14, v[8:9]
	ds_read2_b64 v[6:9], v28 offset0:40 offset1:157
	v_mov_b32_e32 v16, s2
	v_mul_f64 v[2:3], v[2:3], s[0:1]
	v_add_co_u32_e32 v10, vcc, s3, v10
	v_cvt_f32_f64_e32 v12, v[12:13]
	s_waitcnt lgkmcnt(0)
	v_mul_f32_e32 v13, v93, v7
	v_fmac_f32_e32 v13, v92, v6
	v_mul_f32_e32 v6, v93, v6
	v_addc_co_u32_e32 v11, vcc, v11, v16, vcc
	v_fma_f32 v6, v92, v7, -v6
	global_store_dwordx2 v[10:11], v[14:15], off
	v_cvt_f64_f32_e32 v[14:15], v13
	v_cvt_f64_f32_e32 v[6:7], v6
	v_cvt_f32_f64_e32 v13, v[2:3]
	v_mov_b32_e32 v16, s4
	v_mul_f64 v[2:3], v[14:15], s[0:1]
	v_mul_f64 v[6:7], v[6:7], s[0:1]
	v_add_co_u32_e32 v10, vcc, s5, v10
	v_addc_co_u32_e32 v11, vcc, v11, v16, vcc
	global_store_dwordx2 v[10:11], v[12:13], off
	v_mul_f32_e32 v12, v91, v5
	v_fmac_f32_e32 v12, v90, v4
	v_cvt_f64_f32_e32 v[12:13], v12
	v_mul_f32_e32 v4, v91, v4
	v_fma_f32 v4, v90, v5, -v4
	v_cvt_f32_f64_e32 v2, v[2:3]
	v_cvt_f32_f64_e32 v3, v[6:7]
	v_mul_f64 v[6:7], v[12:13], s[0:1]
	v_cvt_f64_f32_e32 v[4:5], v4
	v_mov_b32_e32 v14, s2
	v_add_co_u32_e32 v10, vcc, s3, v10
	v_addc_co_u32_e32 v11, vcc, v11, v14, vcc
	global_store_dwordx2 v[10:11], v[2:3], off
	v_mul_f64 v[2:3], v[4:5], s[0:1]
	v_mul_f32_e32 v4, v89, v9
	v_fmac_f32_e32 v4, v88, v8
	v_cvt_f64_f32_e32 v[12:13], v4
	v_mul_f32_e32 v4, v89, v8
	v_fma_f32 v4, v88, v9, -v4
	v_cvt_f32_f64_e32 v5, v[6:7]
	v_cvt_f64_f32_e32 v[7:8], v4
	v_cvt_f32_f64_e32 v6, v[2:3]
	v_mov_b32_e32 v2, s4
	v_mul_f64 v[12:13], v[12:13], s[0:1]
	v_mul_f64 v[7:8], v[7:8], s[0:1]
	v_add_co_u32_e32 v9, vcc, s5, v10
	v_addc_co_u32_e32 v10, vcc, v11, v2, vcc
	ds_read2_b64 v[1:4], v1 offset0:84 offset1:201
	global_store_dwordx2 v[9:10], v[5:6], off
	v_cvt_f32_f64_e32 v11, v[12:13]
	v_cvt_f32_f64_e32 v12, v[7:8]
	v_mov_b32_e32 v15, s2
	s_waitcnt lgkmcnt(0)
	v_mul_f32_e32 v5, v87, v2
	v_fmac_f32_e32 v5, v86, v1
	v_mul_f32_e32 v1, v87, v1
	v_cvt_f64_f32_e32 v[13:14], v5
	v_fma_f32 v1, v86, v2, -v1
	ds_read2_b64 v[5:8], v0 offset0:18 offset1:135
	v_cvt_f64_f32_e32 v[1:2], v1
	v_add_co_u32_e32 v9, vcc, s3, v9
	v_addc_co_u32_e32 v10, vcc, v10, v15, vcc
	global_store_dwordx2 v[9:10], v[11:12], off
	v_mul_f64 v[11:12], v[13:14], s[0:1]
	v_mul_f64 v[0:1], v[1:2], s[0:1]
	s_waitcnt lgkmcnt(0)
	v_mul_f32_e32 v2, v85, v6
	v_fmac_f32_e32 v2, v84, v5
	v_cvt_f64_f32_e32 v[13:14], v2
	v_mul_f32_e32 v2, v85, v5
	v_fma_f32 v2, v84, v6, -v2
	v_cvt_f64_f32_e32 v[5:6], v2
	v_cvt_f32_f64_e32 v11, v[11:12]
	v_cvt_f32_f64_e32 v12, v[0:1]
	v_mul_f64 v[0:1], v[13:14], s[0:1]
	v_mul_f64 v[5:6], v[5:6], s[0:1]
	v_mov_b32_e32 v2, s4
	v_add_co_u32_e32 v9, vcc, s5, v9
	v_addc_co_u32_e32 v10, vcc, v10, v2, vcc
	v_mul_f32_e32 v2, v83, v4
	v_fmac_f32_e32 v2, v82, v3
	v_cvt_f32_f64_e32 v0, v[0:1]
	v_cvt_f32_f64_e32 v1, v[5:6]
	v_cvt_f64_f32_e32 v[5:6], v2
	v_mul_f32_e32 v2, v83, v3
	v_fma_f32 v2, v82, v4, -v2
	v_cvt_f64_f32_e32 v[2:3], v2
	global_store_dwordx2 v[9:10], v[11:12], off
	v_mov_b32_e32 v11, s2
	v_add_co_u32_e32 v9, vcc, s3, v9
	v_addc_co_u32_e32 v10, vcc, v10, v11, vcc
	global_store_dwordx2 v[9:10], v[0:1], off
	v_mul_f64 v[0:1], v[5:6], s[0:1]
	v_mul_f64 v[2:3], v[2:3], s[0:1]
	v_mul_f32_e32 v4, v81, v8
	v_mul_f32_e32 v6, v81, v7
	v_fmac_f32_e32 v4, v80, v7
	v_fma_f32 v6, v80, v8, -v6
	v_cvt_f64_f32_e32 v[4:5], v4
	v_cvt_f64_f32_e32 v[6:7], v6
	v_cvt_f32_f64_e32 v0, v[0:1]
	v_cvt_f32_f64_e32 v1, v[2:3]
	v_mul_f64 v[2:3], v[4:5], s[0:1]
	v_mul_f64 v[4:5], v[6:7], s[0:1]
	v_mov_b32_e32 v7, s4
	v_add_co_u32_e32 v6, vcc, s5, v9
	v_addc_co_u32_e32 v7, vcc, v10, v7, vcc
	global_store_dwordx2 v[6:7], v[0:1], off
	v_cvt_f32_f64_e32 v0, v[2:3]
	v_cvt_f32_f64_e32 v1, v[4:5]
	v_mov_b32_e32 v3, s2
	v_add_co_u32_e32 v2, vcc, s3, v6
	v_addc_co_u32_e32 v3, vcc, v7, v3, vcc
	global_store_dwordx2 v[2:3], v[0:1], off
.LBB0_10:
	s_endpgm
	.section	.rodata,"a",@progbits
	.p2align	6, 0x0
	.amdhsa_kernel bluestein_single_back_len1404_dim1_sp_op_CI_CI
		.amdhsa_group_segment_fixed_size 11232
		.amdhsa_private_segment_fixed_size 0
		.amdhsa_kernarg_size 104
		.amdhsa_user_sgpr_count 6
		.amdhsa_user_sgpr_private_segment_buffer 1
		.amdhsa_user_sgpr_dispatch_ptr 0
		.amdhsa_user_sgpr_queue_ptr 0
		.amdhsa_user_sgpr_kernarg_segment_ptr 1
		.amdhsa_user_sgpr_dispatch_id 0
		.amdhsa_user_sgpr_flat_scratch_init 0
		.amdhsa_user_sgpr_private_segment_size 0
		.amdhsa_uses_dynamic_stack 0
		.amdhsa_system_sgpr_private_segment_wavefront_offset 0
		.amdhsa_system_sgpr_workgroup_id_x 1
		.amdhsa_system_sgpr_workgroup_id_y 0
		.amdhsa_system_sgpr_workgroup_id_z 0
		.amdhsa_system_sgpr_workgroup_info 0
		.amdhsa_system_vgpr_workitem_id 0
		.amdhsa_next_free_vgpr 222
		.amdhsa_next_free_sgpr 20
		.amdhsa_reserve_vcc 1
		.amdhsa_reserve_flat_scratch 0
		.amdhsa_float_round_mode_32 0
		.amdhsa_float_round_mode_16_64 0
		.amdhsa_float_denorm_mode_32 3
		.amdhsa_float_denorm_mode_16_64 3
		.amdhsa_dx10_clamp 1
		.amdhsa_ieee_mode 1
		.amdhsa_fp16_overflow 0
		.amdhsa_exception_fp_ieee_invalid_op 0
		.amdhsa_exception_fp_denorm_src 0
		.amdhsa_exception_fp_ieee_div_zero 0
		.amdhsa_exception_fp_ieee_overflow 0
		.amdhsa_exception_fp_ieee_underflow 0
		.amdhsa_exception_fp_ieee_inexact 0
		.amdhsa_exception_int_div_zero 0
	.end_amdhsa_kernel
	.text
.Lfunc_end0:
	.size	bluestein_single_back_len1404_dim1_sp_op_CI_CI, .Lfunc_end0-bluestein_single_back_len1404_dim1_sp_op_CI_CI
                                        ; -- End function
	.section	.AMDGPU.csdata,"",@progbits
; Kernel info:
; codeLenInByte = 15200
; NumSgprs: 24
; NumVgprs: 222
; ScratchSize: 0
; MemoryBound: 0
; FloatMode: 240
; IeeeMode: 1
; LDSByteSize: 11232 bytes/workgroup (compile time only)
; SGPRBlocks: 2
; VGPRBlocks: 55
; NumSGPRsForWavesPerEU: 24
; NumVGPRsForWavesPerEU: 222
; Occupancy: 1
; WaveLimiterHint : 1
; COMPUTE_PGM_RSRC2:SCRATCH_EN: 0
; COMPUTE_PGM_RSRC2:USER_SGPR: 6
; COMPUTE_PGM_RSRC2:TRAP_HANDLER: 0
; COMPUTE_PGM_RSRC2:TGID_X_EN: 1
; COMPUTE_PGM_RSRC2:TGID_Y_EN: 0
; COMPUTE_PGM_RSRC2:TGID_Z_EN: 0
; COMPUTE_PGM_RSRC2:TIDIG_COMP_CNT: 0
	.type	__hip_cuid_b39cedfefeb31a82,@object ; @__hip_cuid_b39cedfefeb31a82
	.section	.bss,"aw",@nobits
	.globl	__hip_cuid_b39cedfefeb31a82
__hip_cuid_b39cedfefeb31a82:
	.byte	0                               ; 0x0
	.size	__hip_cuid_b39cedfefeb31a82, 1

	.ident	"AMD clang version 19.0.0git (https://github.com/RadeonOpenCompute/llvm-project roc-6.4.0 25133 c7fe45cf4b819c5991fe208aaa96edf142730f1d)"
	.section	".note.GNU-stack","",@progbits
	.addrsig
	.addrsig_sym __hip_cuid_b39cedfefeb31a82
	.amdgpu_metadata
---
amdhsa.kernels:
  - .args:
      - .actual_access:  read_only
        .address_space:  global
        .offset:         0
        .size:           8
        .value_kind:     global_buffer
      - .actual_access:  read_only
        .address_space:  global
        .offset:         8
        .size:           8
        .value_kind:     global_buffer
      - .actual_access:  read_only
        .address_space:  global
        .offset:         16
        .size:           8
        .value_kind:     global_buffer
      - .actual_access:  read_only
        .address_space:  global
        .offset:         24
        .size:           8
        .value_kind:     global_buffer
      - .actual_access:  read_only
        .address_space:  global
        .offset:         32
        .size:           8
        .value_kind:     global_buffer
      - .offset:         40
        .size:           8
        .value_kind:     by_value
      - .address_space:  global
        .offset:         48
        .size:           8
        .value_kind:     global_buffer
      - .address_space:  global
        .offset:         56
        .size:           8
        .value_kind:     global_buffer
      - .address_space:  global
        .offset:         64
        .size:           8
        .value_kind:     global_buffer
      - .address_space:  global
        .offset:         72
        .size:           8
        .value_kind:     global_buffer
      - .offset:         80
        .size:           4
        .value_kind:     by_value
      - .address_space:  global
        .offset:         88
        .size:           8
        .value_kind:     global_buffer
      - .address_space:  global
        .offset:         96
        .size:           8
        .value_kind:     global_buffer
    .group_segment_fixed_size: 11232
    .kernarg_segment_align: 8
    .kernarg_segment_size: 104
    .language:       OpenCL C
    .language_version:
      - 2
      - 0
    .max_flat_workgroup_size: 117
    .name:           bluestein_single_back_len1404_dim1_sp_op_CI_CI
    .private_segment_fixed_size: 0
    .sgpr_count:     24
    .sgpr_spill_count: 0
    .symbol:         bluestein_single_back_len1404_dim1_sp_op_CI_CI.kd
    .uniform_work_group_size: 1
    .uses_dynamic_stack: false
    .vgpr_count:     222
    .vgpr_spill_count: 0
    .wavefront_size: 64
amdhsa.target:   amdgcn-amd-amdhsa--gfx906
amdhsa.version:
  - 1
  - 2
...

	.end_amdgpu_metadata
